;; amdgpu-corpus repo=ROCm/rocFFT kind=compiled arch=gfx950 opt=O3
	.text
	.amdgcn_target "amdgcn-amd-amdhsa--gfx950"
	.amdhsa_code_object_version 6
	.protected	bluestein_single_back_len1008_dim1_sp_op_CI_CI ; -- Begin function bluestein_single_back_len1008_dim1_sp_op_CI_CI
	.globl	bluestein_single_back_len1008_dim1_sp_op_CI_CI
	.p2align	8
	.type	bluestein_single_back_len1008_dim1_sp_op_CI_CI,@function
bluestein_single_back_len1008_dim1_sp_op_CI_CI: ; @bluestein_single_back_len1008_dim1_sp_op_CI_CI
; %bb.0:
	s_load_dwordx4 s[12:15], s[0:1], 0x28
	v_mul_u32_u24_e32 v1, 0x493, v0
	v_add_u32_sdwa v114, s2, v1 dst_sel:DWORD dst_unused:UNUSED_PAD src0_sel:DWORD src1_sel:WORD_1
	v_mov_b32_e32 v115, 0
	s_waitcnt lgkmcnt(0)
	v_cmp_gt_u64_e32 vcc, s[12:13], v[114:115]
	s_and_saveexec_b64 s[2:3], vcc
	s_cbranch_execz .LBB0_10
; %bb.1:
	s_load_dwordx4 s[4:7], s[0:1], 0x18
	s_load_dwordx4 s[8:11], s[0:1], 0x0
	v_mov_b32_e32 v2, s14
	v_mov_b32_e32 v3, s15
	;; [unrolled: 1-line block ×3, first 2 shown]
	s_waitcnt lgkmcnt(0)
	s_load_dwordx4 s[12:15], s[4:5], 0x0
	v_mul_lo_u16_sdwa v1, v1, v4 dst_sel:DWORD dst_unused:UNUSED_PAD src0_sel:WORD_1 src1_sel:DWORD
	v_sub_u16_e32 v118, v0, v1
	v_mov_b32_e32 v36, 0xfc0
	v_lshlrev_b32_e32 v108, 3, v118
	s_waitcnt lgkmcnt(0)
	v_mad_u64_u32 v[0:1], s[2:3], s14, v114, 0
	v_mov_b32_e32 v4, v1
	v_mad_u64_u32 v[4:5], s[2:3], s15, v114, v[4:5]
	v_mov_b32_e32 v1, v4
	v_mad_u64_u32 v[4:5], s[2:3], s12, v118, 0
	v_mov_b32_e32 v6, v5
	v_mad_u64_u32 v[6:7], s[2:3], s13, v118, v[6:7]
	v_mov_b32_e32 v5, v6
	v_lshl_add_u64 v[0:1], v[0:1], 3, v[2:3]
	v_lshl_add_u64 v[4:5], v[4:5], 3, v[0:1]
	global_load_dwordx2 v[2:3], v[4:5], off
	v_mad_u64_u32 v[4:5], s[2:3], s12, v36, v[4:5]
	s_mul_i32 s2, s13, 0xfc0
	global_load_dwordx2 v[128:129], v108, s[8:9]
	global_load_dwordx2 v[124:125], v108, s[8:9] offset:4032
	v_add_u32_e32 v5, s2, v5
	v_mov_b32_e32 v38, 0xfffff200
	v_mad_u64_u32 v[10:11], s[4:5], s12, v38, v[4:5]
	global_load_dwordx2 v[4:5], v[4:5], off
	s_mul_i32 s3, s13, 0xfffff200
	s_sub_i32 s3, s3, s12
	v_add_u32_e32 v11, s3, v11
	global_load_dwordx2 v[8:9], v[10:11], off
	global_load_dwordx2 v[122:123], v108, s[8:9] offset:448
	v_mov_b32_e32 v109, v115
	s_movk_i32 s14, 0x1000
	v_lshl_add_u64 v[12:13], s[8:9], 0, v[108:109]
	v_add_co_u32_e32 v12, vcc, s14, v12
	v_mad_u64_u32 v[10:11], s[14:15], s12, v36, v[10:11]
	v_add_u32_e32 v11, s2, v11
	v_mad_u64_u32 v[14:15], s[14:15], s12, v38, v[10:11]
	s_mov_b32 s4, 0
	v_addc_co_u32_e32 v13, vcc, 0, v13, vcc
	v_add_u32_e32 v15, s3, v15
	v_mov_b32_e32 v119, s4
	s_load_dwordx4 s[4:7], s[6:7], 0x0
	global_load_dwordx2 v[116:117], v108, s[8:9] offset:896
	global_load_dwordx2 v[112:113], v108, s[8:9] offset:1344
	;; [unrolled: 1-line block ×3, first 2 shown]
	global_load_dwordx2 v[148:149], v[12:13], off offset:384
	global_load_dwordx2 v[146:147], v[12:13], off offset:832
	;; [unrolled: 1-line block ×4, first 2 shown]
	global_load_dwordx2 v[16:17], v[10:11], off
	global_load_dwordx2 v[18:19], v[14:15], off
	v_mad_u64_u32 v[10:11], s[14:15], s12, v36, v[14:15]
	v_add_u32_e32 v11, s2, v11
	global_load_dwordx2 v[14:15], v[10:11], off
	v_mad_u64_u32 v[10:11], s[14:15], s12, v38, v[10:11]
	v_add_u32_e32 v11, s3, v11
	;; [unrolled: 3-line block ×4, first 2 shown]
	global_load_dwordx2 v[24:25], v[10:11], off
	v_mad_u64_u32 v[10:11], s[14:15], s12, v36, v[10:11]
	v_lshl_add_u64 v[6:7], v[118:119], 0, 56
	v_add_u32_e32 v11, s2, v11
	global_load_dwordx2 v[26:27], v[10:11], off
	v_mad_u64_u32 v[10:11], s[14:15], s12, v38, v[10:11]
	v_add_u32_e32 v11, s3, v11
	global_load_dwordx2 v[30:31], v[10:11], off
	global_load_dwordx2 v[144:145], v108, s[8:9] offset:1792
	v_or_b32_e32 v109, 0x1c0, v118
	v_lshlrev_b32_e32 v56, 4, v6
	v_accvgpr_write_b32 a29, v56
	v_cmp_gt_u16_e32 vcc, 48, v118
	s_waitcnt vmcnt(20)
	v_mul_f32_e32 v28, v3, v129
	v_mul_f32_e32 v7, v2, v129
	v_fmac_f32_e32 v28, v2, v128
	v_fma_f32 v29, v3, v128, -v7
	v_or_b32_e32 v7, 0x380, v118
	v_accvgpr_write_b32 a0, v7
	s_waitcnt vmcnt(18)
	v_mul_f32_e32 v2, v5, v125
	v_mul_f32_e32 v3, v4, v125
	v_fmac_f32_e32 v2, v4, v124
	v_fma_f32 v3, v5, v124, -v3
	v_mad_u64_u32 v[4:5], s[14:15], s12, v36, v[10:11]
	ds_write_b64 v108, v[2:3] offset:4032
	v_add_u32_e32 v5, s2, v5
	global_load_dwordx2 v[32:33], v[4:5], off
	global_load_dwordx2 v[138:139], v[12:13], off offset:2176
	v_mad_u64_u32 v[4:5], s[14:15], s12, v38, v[4:5]
	v_add_u32_e32 v5, s3, v5
	global_load_dwordx2 v[34:35], v[4:5], off
	v_mad_u64_u32 v[4:5], s[14:15], s12, v36, v[4:5]
	v_add_u32_e32 v5, s2, v5
	s_waitcnt vmcnt(19)
	v_mul_f32_e32 v2, v9, v123
	v_mul_f32_e32 v3, v8, v123
	global_load_dwordx2 v[140:141], v108, s[8:9] offset:2240
	global_load_dwordx2 v[36:37], v[4:5], off
	v_mad_u64_u32 v[4:5], s[14:15], s12, v38, v[4:5]
	v_fmac_f32_e32 v2, v8, v122
	v_fma_f32 v3, v9, v122, -v3
	v_add_u32_e32 v5, s3, v5
	v_mad_u64_u32 v[8:9], s[2:3], s12, v7, 0
	v_mov_b32_e32 v10, v9
	v_mad_u64_u32 v[10:11], s[2:3], s13, v7, v[10:11]
	v_mov_b32_e32 v9, v10
	v_lshl_add_u64 v[8:9], v[8:9], 3, v[0:1]
	global_load_dwordx2 v[38:39], v[4:5], off
	global_load_dwordx2 v[134:135], v108, s[8:9] offset:2688
	global_load_dwordx2 v[130:131], v108, s[8:9] offset:3136
	global_load_dwordx2 v[40:41], v[8:9], off
	v_mad_u64_u32 v[8:9], s[2:3], s12, v109, 0
	global_load_dwordx2 v[132:133], v[12:13], off offset:2624
	v_mov_b32_e32 v10, v9
	v_lshlrev_b32_e32 v7, 3, v7
	v_mad_u64_u32 v[10:11], s[2:3], s13, v109, v[10:11]
	v_accvgpr_write_b32 a35, v7
	global_load_dwordx2 v[126:127], v7, s[8:9]
	v_mov_b32_e32 v9, v10
	v_mov_b32_e32 v7, 0x1180
	v_lshl_add_u64 v[0:1], v[8:9], 3, v[0:1]
	v_mad_u64_u32 v[4:5], s[2:3], s12, v7, v[4:5]
	global_load_dwordx2 v[0:1], v[0:1], off
	s_mul_i32 s2, s13, 0x1180
	v_add_u32_e32 v5, s2, v5
	global_load_dwordx2 v[42:43], v[4:5], off
	global_load_dwordx2 v[120:121], v[12:13], off offset:3520
	s_mov_b64 s[2:3], 0x70
	v_lshl_add_u64 v[4:5], v[118:119], 0, s[2:3]
	s_waitcnt vmcnt(21)
	v_mul_f32_e32 v5, v18, v117
	ds_write2_b64 v108, v[28:29], v[2:3] offset1:56
	v_mul_f32_e32 v2, v17, v149
	v_mul_f32_e32 v3, v16, v149
	v_fma_f32 v9, v19, v116, -v5
	s_waitcnt vmcnt(20)
	v_mul_f32_e32 v10, v15, v147
	v_mul_f32_e32 v5, v14, v147
	v_fmac_f32_e32 v2, v16, v148
	v_fma_f32 v3, v17, v148, -v3
	v_fmac_f32_e32 v10, v14, v146
	v_fma_f32 v11, v15, v146, -v5
	v_add_u32_e32 v5, 0x1000, v108
	v_mul_f32_e32 v8, v19, v117
	ds_write2_b64 v5, v[2:3], v[10:11] offset0:48 offset1:104
	s_waitcnt vmcnt(19)
	v_mul_f32_e32 v2, v21, v113
	v_mul_f32_e32 v3, v20, v113
	v_fmac_f32_e32 v8, v18, v116
	v_fmac_f32_e32 v2, v20, v112
	v_fma_f32 v3, v21, v112, -v3
	s_waitcnt vmcnt(14)
	v_mul_f32_e32 v7, v24, v145
	ds_write2_b64 v108, v[8:9], v[2:3] offset0:112 offset1:168
	v_mul_f32_e32 v2, v23, v143
	v_mul_f32_e32 v3, v22, v143
	v_fma_f32 v13, v25, v144, -v7
	v_mul_f32_e32 v14, v27, v137
	v_mul_f32_e32 v7, v26, v137
	v_fmac_f32_e32 v2, v22, v142
	v_fma_f32 v3, v23, v142, -v3
	v_fmac_f32_e32 v14, v26, v136
	v_fma_f32 v15, v27, v136, -v7
	v_mul_f32_e32 v12, v25, v145
	ds_write2_b64 v5, v[2:3], v[14:15] offset0:160 offset1:216
	v_fmac_f32_e32 v12, v24, v144
	v_add_u32_e32 v15, 0x400, v108
	v_add_u32_e32 v14, 0x800, v108
	s_mov_b64 s[2:3], 0xa8
	v_lshl_add_u64 v[10:11], v[118:119], 0, s[2:3]
	s_mov_b64 s[2:3], 0xe0
	v_lshl_add_u64 v[8:9], v[118:119], 0, s[2:3]
	s_mov_b64 s[2:3], 0x118
	v_lshlrev_b32_e32 v11, 4, v118
	v_lshlrev_b32_e32 v57, 4, v4
	v_accvgpr_write_b32 a28, v11
	v_accvgpr_write_b32 a30, v57
	s_waitcnt vmcnt(10)
	v_mul_f32_e32 v2, v31, v141
	v_mul_f32_e32 v3, v30, v141
	v_fmac_f32_e32 v2, v30, v140
	v_fma_f32 v3, v31, v140, -v3
	ds_write2_b64 v15, v[12:13], v[2:3] offset0:96 offset1:152
	v_mul_f32_e32 v2, v33, v139
	v_mul_f32_e32 v3, v32, v139
	v_fmac_f32_e32 v2, v32, v138
	v_fma_f32 v3, v33, v138, -v3
	s_movk_i32 s12, 0xffd0
	s_mov_b32 s13, -1
	s_waitcnt vmcnt(7)
	v_mul_f32_e32 v7, v34, v135
	v_fma_f32 v13, v35, v134, -v7
	v_mul_f32_e32 v12, v35, v135
	v_fmac_f32_e32 v12, v34, v134
	s_waitcnt vmcnt(4)
	v_mul_f32_e32 v16, v37, v133
	v_mul_f32_e32 v7, v36, v133
	v_fmac_f32_e32 v16, v36, v132
	v_fma_f32 v17, v37, v132, -v7
	v_add_u32_e32 v7, 0x1800, v108
	ds_write2_b64 v7, v[2:3], v[16:17] offset0:16 offset1:72
	v_mul_f32_e32 v2, v39, v131
	v_mul_f32_e32 v3, v38, v131
	v_fmac_f32_e32 v2, v38, v130
	v_fma_f32 v3, v39, v130, -v3
	ds_write2_b64 v14, v[12:13], v[2:3] offset0:80 offset1:136
	s_waitcnt vmcnt(3)
	v_mul_f32_e32 v2, v41, v127
	s_waitcnt vmcnt(2)
	v_mul_f32_e32 v12, v1, v111
	v_fmac_f32_e32 v12, v0, v110
	v_mul_f32_e32 v0, v0, v111
	v_mul_f32_e32 v3, v40, v127
	v_fma_f32 v13, v1, v110, -v0
	s_waitcnt vmcnt(0)
	v_mul_f32_e32 v0, v43, v121
	v_mul_f32_e32 v1, v42, v121
	v_fmac_f32_e32 v2, v40, v126
	v_fma_f32 v3, v41, v126, -v3
	v_fmac_f32_e32 v0, v42, v120
	v_fma_f32 v1, v43, v120, -v1
	ds_write_b64 v108, v[12:13] offset:3584
	ds_write2_b64 v7, v[2:3], v[0:1] offset0:128 offset1:184
	s_waitcnt lgkmcnt(0)
	; wave barrier
	s_waitcnt lgkmcnt(0)
	ds_read2_b64 v[0:3], v108 offset1:56
	ds_read2_b64 v[16:19], v14 offset0:192 offset1:248
	ds_read2_b64 v[20:23], v5 offset0:48 offset1:104
	;; [unrolled: 1-line block ×5, first 2 shown]
	s_waitcnt lgkmcnt(4)
	v_pk_add_f32 v[26:27], v[0:1], v[18:19] neg_lo:[0,1] neg_hi:[0,1]
	s_waitcnt lgkmcnt(3)
	v_pk_add_f32 v[20:21], v[2:3], v[20:21] neg_lo:[0,1] neg_hi:[0,1]
	v_pk_fma_f32 v[24:25], v[0:1], 2.0, v[26:27] op_sel_hi:[1,0,1] neg_lo:[0,0,1] neg_hi:[0,0,1]
	v_pk_fma_f32 v[18:19], v[2:3], 2.0, v[20:21] op_sel_hi:[1,0,1] neg_lo:[0,0,1] neg_hi:[0,0,1]
	ds_read2_b64 v[0:3], v5 offset0:160 offset1:216
	s_waitcnt lgkmcnt(3)
	v_pk_add_f32 v[34:35], v[28:29], v[22:23] neg_lo:[0,1] neg_hi:[0,1]
	ds_read2_b64 v[52:55], v7 offset0:128 offset1:184
	v_pk_fma_f32 v[32:33], v[28:29], 2.0, v[34:35] op_sel_hi:[1,0,1] neg_lo:[0,0,1] neg_hi:[0,0,1]
	v_lshl_add_u64 v[12:13], v[118:119], 0, s[2:3]
	s_waitcnt lgkmcnt(1)
	v_pk_add_f32 v[42:43], v[30:31], v[0:1] neg_lo:[0,1] neg_hi:[0,1]
	v_pk_add_f32 v[2:3], v[36:37], v[2:3] neg_lo:[0,1] neg_hi:[0,1]
	v_pk_fma_f32 v[40:41], v[30:31], 2.0, v[42:43] op_sel_hi:[1,0,1] neg_lo:[0,0,1] neg_hi:[0,0,1]
	ds_read2_b64 v[28:31], v7 offset0:16 offset1:72
	v_pk_fma_f32 v[0:1], v[36:37], 2.0, v[2:3] op_sel_hi:[1,0,1] neg_lo:[0,0,1] neg_hi:[0,0,1]
	v_lshlrev_b32_e32 v22, 4, v10
	v_lshlrev_b32_e32 v23, 4, v8
	;; [unrolled: 1-line block ×3, first 2 shown]
	s_waitcnt lgkmcnt(0)
	v_pk_add_f32 v[50:51], v[38:39], v[28:29] neg_lo:[0,1] neg_hi:[0,1]
	v_pk_add_f32 v[30:31], v[44:45], v[30:31] neg_lo:[0,1] neg_hi:[0,1]
	v_pk_fma_f32 v[48:49], v[38:39], 2.0, v[50:51] op_sel_hi:[1,0,1] neg_lo:[0,0,1] neg_hi:[0,0,1]
	v_pk_add_f32 v[38:39], v[46:47], v[52:53] neg_lo:[0,1] neg_hi:[0,1]
	v_pk_fma_f32 v[28:29], v[44:45], 2.0, v[30:31] op_sel_hi:[1,0,1] neg_lo:[0,0,1] neg_hi:[0,0,1]
	v_pk_fma_f32 v[36:37], v[46:47], 2.0, v[38:39] op_sel_hi:[1,0,1] neg_lo:[0,0,1] neg_hi:[0,0,1]
	v_pk_add_f32 v[46:47], v[16:17], v[54:55] neg_lo:[0,1] neg_hi:[0,1]
	v_lshlrev_b32_e32 v58, 4, v12
	v_pk_fma_f32 v[44:45], v[16:17], 2.0, v[46:47] op_sel_hi:[1,0,1] neg_lo:[0,0,1] neg_hi:[0,0,1]
	v_and_b32_e32 v16, 1, v118
	v_lshlrev_b32_e32 v52, 4, v109
	s_waitcnt lgkmcnt(0)
	; wave barrier
	ds_write_b128 v11, v[24:27]
	ds_write_b128 v56, v[18:21]
	;; [unrolled: 1-line block ×5, first 2 shown]
	v_lshlrev_b32_e32 v0, 3, v16
	v_lshlrev_b32_e32 v9, 3, v13
	ds_write_b128 v58, v[48:51]
	ds_write_b128 v9, v[28:31] offset:5376
	ds_write_b128 v9, v[36:39] offset:6272
	ds_write_b128 v52, v[44:47]
	s_waitcnt lgkmcnt(0)
	; wave barrier
	s_waitcnt lgkmcnt(0)
	global_load_dwordx2 v[166:167], v0, s[10:11]
	s_movk_i32 s2, 0x7c
	v_accvgpr_write_b32 a34, v52
	v_lshlrev_b32_e32 v52, 1, v6
	v_and_or_b32 v0, v13, s2, v16
	s_movk_i32 s2, 0xfc
	v_accvgpr_write_b32 a33, v58
	v_lshlrev_b32_e32 v53, 1, v4
	v_lshlrev_b32_e32 v58, 3, v0
	v_and_or_b32 v0, v52, s2, v16
	s_movk_i32 s2, 0x1fc
	v_lshlrev_b32_e32 v54, 1, v10
	v_lshlrev_b32_e32 v59, 3, v0
	v_and_or_b32 v0, v53, s2, v16
	v_lshlrev_b32_e32 v55, 1, v8
	v_lshlrev_b32_e32 v60, 3, v0
	v_and_or_b32 v0, v54, s2, v16
	s_movk_i32 s2, 0x3fc
	v_lshlrev_b32_e32 v56, 1, v12
	v_lshlrev_b32_e32 v61, 3, v0
	v_and_or_b32 v0, v55, s2, v16
	s_movk_i32 s3, 0x2fc
	v_add_u32_e32 v9, 0x2a0, v13
	v_lshlrev_b32_e32 v62, 3, v0
	v_and_or_b32 v0, v56, s3, v16
	v_lshlrev_b32_e32 v63, 3, v0
	v_and_or_b32 v0, v9, s2, v16
	v_lshlrev_b32_e32 v64, 3, v0
	ds_read2_b64 v[0:3], v7 offset0:128 offset1:184
	v_add_u32_e32 v11, 0x310, v13
	v_lshlrev_b32_e32 v57, 1, v109
	v_and_or_b32 v17, v11, s2, v16
	v_and_or_b32 v16, v57, s2, v16
	v_lshlrev_b32_e32 v65, 3, v17
	v_lshlrev_b32_e32 v66, 3, v16
	ds_read2_b64 v[16:19], v14 offset0:192 offset1:248
	ds_read2_b64 v[24:27], v7 offset0:16 offset1:72
	v_accvgpr_write_b32 a31, v22
	v_accvgpr_write_b32 a32, v23
	s_movk_i32 s2, 0x78
	v_accvgpr_write_b32 a19, v58
	v_accvgpr_write_b32 a20, v59
	;; [unrolled: 1-line block ×4, first 2 shown]
	s_movk_i32 s3, 0x2f8
	v_accvgpr_write_b32 a23, v62
	v_accvgpr_write_b32 a24, v63
	;; [unrolled: 1-line block ×5, first 2 shown]
	s_waitcnt vmcnt(0) lgkmcnt(2)
	v_pk_mul_f32 v[20:21], v[2:3], v[166:167] op_sel:[0,1]
	s_nop 0
	v_pk_fma_f32 v[22:23], v[2:3], v[166:167], v[20:21] op_sel:[0,0,1] op_sel_hi:[1,1,0] neg_lo:[0,0,1] neg_hi:[0,0,1]
	v_pk_fma_f32 v[2:3], v[2:3], v[166:167], v[20:21] op_sel:[0,0,1] op_sel_hi:[1,0,0]
	s_waitcnt lgkmcnt(0)
	v_pk_mul_f32 v[36:37], v[24:25], v[166:167] op_sel:[0,1]
	v_mov_b32_e32 v23, v3
	v_pk_add_f32 v[28:29], v[16:17], v[22:23] neg_lo:[0,1] neg_hi:[0,1]
	ds_read2_b64 v[20:23], v14 offset0:80 offset1:136
	v_pk_mul_f32 v[2:3], v[0:1], v[166:167] op_sel:[0,1]
	v_pk_fma_f32 v[38:39], v[24:25], v[166:167], v[36:37] op_sel:[0,0,1] op_sel_hi:[1,1,0] neg_lo:[0,0,1] neg_hi:[0,0,1]
	v_pk_fma_f32 v[30:31], v[0:1], v[166:167], v[2:3] op_sel:[0,0,1] op_sel_hi:[1,1,0] neg_lo:[0,0,1] neg_hi:[0,0,1]
	v_pk_fma_f32 v[0:1], v[0:1], v[166:167], v[2:3] op_sel:[0,0,1] op_sel_hi:[1,0,0]
	v_pk_fma_f32 v[24:25], v[24:25], v[166:167], v[36:37] op_sel:[0,0,1] op_sel_hi:[1,0,0]
	v_mov_b32_e32 v31, v1
	v_pk_mul_f32 v[0:1], v[26:27], v[166:167] op_sel:[0,1]
	s_waitcnt lgkmcnt(0)
	v_pk_add_f32 v[30:31], v[22:23], v[30:31] neg_lo:[0,1] neg_hi:[0,1]
	v_pk_fma_f32 v[2:3], v[26:27], v[166:167], v[0:1] op_sel:[0,0,1] op_sel_hi:[1,1,0] neg_lo:[0,0,1] neg_hi:[0,0,1]
	v_pk_fma_f32 v[0:1], v[26:27], v[166:167], v[0:1] op_sel:[0,0,1] op_sel_hi:[1,0,0]
	v_pk_fma_f32 v[32:33], v[22:23], 2.0, v[30:31] op_sel_hi:[1,0,1] neg_lo:[0,0,1] neg_hi:[0,0,1]
	v_mov_b32_e32 v3, v1
	v_pk_add_f32 v[26:27], v[20:21], v[2:3] neg_lo:[0,1] neg_hi:[0,1]
	ds_read2_b64 v[0:3], v15 offset0:96 offset1:152
	v_pk_fma_f32 v[34:35], v[20:21], 2.0, v[26:27] op_sel_hi:[1,0,1] neg_lo:[0,0,1] neg_hi:[0,0,1]
	ds_read2_b64 v[20:23], v5 offset0:160 offset1:216
	v_mov_b32_e32 v39, v25
	v_pk_fma_f32 v[16:17], v[16:17], 2.0, v[28:29] op_sel_hi:[1,0,1] neg_lo:[0,0,1] neg_hi:[0,0,1]
	s_waitcnt lgkmcnt(1)
	v_pk_add_f32 v[36:37], v[2:3], v[38:39] neg_lo:[0,1] neg_hi:[0,1]
	s_waitcnt lgkmcnt(0)
	v_pk_mul_f32 v[44:45], v[20:21], v[166:167] op_sel:[0,1]
	v_pk_fma_f32 v[38:39], v[2:3], 2.0, v[36:37] op_sel_hi:[1,0,1] neg_lo:[0,0,1] neg_hi:[0,0,1]
	v_pk_mul_f32 v[2:3], v[22:23], v[166:167] op_sel:[0,1]
	v_pk_fma_f32 v[46:47], v[20:21], v[166:167], v[44:45] op_sel:[0,0,1] op_sel_hi:[1,1,0] neg_lo:[0,0,1] neg_hi:[0,0,1]
	v_pk_fma_f32 v[24:25], v[22:23], v[166:167], v[2:3] op_sel:[0,0,1] op_sel_hi:[1,1,0] neg_lo:[0,0,1] neg_hi:[0,0,1]
	v_pk_fma_f32 v[2:3], v[22:23], v[166:167], v[2:3] op_sel:[0,0,1] op_sel_hi:[1,0,0]
	v_pk_fma_f32 v[20:21], v[20:21], v[166:167], v[44:45] op_sel:[0,0,1] op_sel_hi:[1,0,0]
	v_mov_b32_e32 v25, v3
	v_pk_add_f32 v[40:41], v[0:1], v[24:25] neg_lo:[0,1] neg_hi:[0,1]
	ds_read2_b64 v[22:25], v5 offset0:48 offset1:104
	v_pk_fma_f32 v[42:43], v[0:1], 2.0, v[40:41] op_sel_hi:[1,0,1] neg_lo:[0,0,1] neg_hi:[0,0,1]
	ds_read2_b64 v[0:3], v108 offset0:112 offset1:168
	v_mov_b32_e32 v47, v21
	s_waitcnt lgkmcnt(1)
	v_pk_mul_f32 v[48:49], v[22:23], v[166:167] op_sel:[0,1]
	s_nop 0
	v_pk_fma_f32 v[50:51], v[22:23], v[166:167], v[48:49] op_sel:[0,0,1] op_sel_hi:[1,1,0] neg_lo:[0,0,1] neg_hi:[0,0,1]
	s_waitcnt lgkmcnt(0)
	v_pk_add_f32 v[20:21], v[2:3], v[46:47] neg_lo:[0,1] neg_hi:[0,1]
	v_pk_fma_f32 v[22:23], v[22:23], v[166:167], v[48:49] op_sel:[0,0,1] op_sel_hi:[1,0,0]
	v_pk_fma_f32 v[44:45], v[2:3], 2.0, v[20:21] op_sel_hi:[1,0,1] neg_lo:[0,0,1] neg_hi:[0,0,1]
	v_pk_mul_f32 v[2:3], v[24:25], v[166:167] op_sel:[0,1]
	v_mov_b32_e32 v51, v23
	v_pk_fma_f32 v[46:47], v[24:25], v[166:167], v[2:3] op_sel:[0,0,1] op_sel_hi:[1,1,0] neg_lo:[0,0,1] neg_hi:[0,0,1]
	v_pk_fma_f32 v[2:3], v[24:25], v[166:167], v[2:3] op_sel:[0,0,1] op_sel_hi:[1,0,0]
	v_pk_mul_f32 v[48:49], v[18:19], v[166:167] op_sel:[0,1]
	v_mov_b32_e32 v47, v3
	v_pk_add_f32 v[24:25], v[0:1], v[46:47] neg_lo:[0,1] neg_hi:[0,1]
	s_nop 0
	v_pk_fma_f32 v[46:47], v[0:1], 2.0, v[24:25] op_sel_hi:[1,0,1] neg_lo:[0,0,1] neg_hi:[0,0,1]
	ds_read2_b64 v[0:3], v108 offset1:56
	s_waitcnt lgkmcnt(0)
	; wave barrier
	s_waitcnt lgkmcnt(0)
	v_pk_add_f32 v[22:23], v[2:3], v[50:51] neg_lo:[0,1] neg_hi:[0,1]
	v_pk_fma_f32 v[50:51], v[18:19], v[166:167], v[48:49] op_sel:[0,0,1] op_sel_hi:[1,1,0] neg_lo:[0,0,1] neg_hi:[0,0,1]
	v_pk_fma_f32 v[18:19], v[18:19], v[166:167], v[48:49] op_sel:[0,0,1] op_sel_hi:[1,0,0]
	v_pk_fma_f32 v[2:3], v[2:3], 2.0, v[22:23] op_sel_hi:[1,0,1] neg_lo:[0,0,1] neg_hi:[0,0,1]
	v_mov_b32_e32 v51, v19
	v_pk_add_f32 v[18:19], v[0:1], v[50:51] neg_lo:[0,1] neg_hi:[0,1]
	s_nop 0
	v_pk_fma_f32 v[0:1], v[0:1], 2.0, v[18:19] op_sel_hi:[1,0,1] neg_lo:[0,0,1] neg_hi:[0,0,1]
	ds_write2_b64 v58, v[0:1], v[18:19] offset1:2
	ds_write2_b64 v59, v[2:3], v[22:23] offset1:2
	;; [unrolled: 1-line block ×9, first 2 shown]
	v_and_b32_e32 v16, 3, v118
	v_lshlrev_b32_e32 v0, 3, v16
	s_waitcnt lgkmcnt(0)
	; wave barrier
	s_waitcnt lgkmcnt(0)
	global_load_dwordx2 v[164:165], v0, s[10:11] offset:16
	v_and_or_b32 v0, v13, s2, v16
	s_movk_i32 s2, 0xf8
	v_lshlrev_b32_e32 v58, 3, v0
	v_and_or_b32 v0, v52, s2, v16
	s_movk_i32 s2, 0x1f8
	v_lshlrev_b32_e32 v59, 3, v0
	v_and_or_b32 v0, v53, s2, v16
	v_lshlrev_b32_e32 v60, 3, v0
	v_and_or_b32 v0, v54, s2, v16
	s_movk_i32 s2, 0x3f8
	v_lshlrev_b32_e32 v61, 3, v0
	v_and_or_b32 v0, v55, s2, v16
	v_lshlrev_b32_e32 v62, 3, v0
	v_and_or_b32 v0, v56, s3, v16
	;; [unrolled: 2-line block ×3, first 2 shown]
	v_lshlrev_b32_e32 v64, 3, v0
	ds_read2_b64 v[0:3], v7 offset0:128 offset1:184
	v_and_or_b32 v17, v11, s2, v16
	v_and_or_b32 v16, v57, s2, v16
	v_lshlrev_b32_e32 v65, 3, v17
	v_lshlrev_b32_e32 v66, 3, v16
	ds_read2_b64 v[16:19], v14 offset0:192 offset1:248
	ds_read2_b64 v[24:27], v7 offset0:16 offset1:72
	s_movk_i32 s2, 0x70
	v_accvgpr_write_b32 a10, v58
	s_movk_i32 s3, 0x2f0
	v_accvgpr_write_b32 a11, v59
	v_accvgpr_write_b32 a12, v60
	;; [unrolled: 1-line block ×8, first 2 shown]
	s_waitcnt vmcnt(0) lgkmcnt(2)
	v_pk_mul_f32 v[20:21], v[2:3], v[164:165] op_sel:[0,1]
	s_nop 0
	v_pk_fma_f32 v[22:23], v[2:3], v[164:165], v[20:21] op_sel:[0,0,1] op_sel_hi:[1,1,0] neg_lo:[0,0,1] neg_hi:[0,0,1]
	v_pk_fma_f32 v[2:3], v[2:3], v[164:165], v[20:21] op_sel:[0,0,1] op_sel_hi:[1,0,0]
	s_waitcnt lgkmcnt(0)
	v_pk_mul_f32 v[36:37], v[24:25], v[164:165] op_sel:[0,1]
	v_mov_b32_e32 v23, v3
	v_pk_add_f32 v[28:29], v[16:17], v[22:23] neg_lo:[0,1] neg_hi:[0,1]
	ds_read2_b64 v[20:23], v14 offset0:80 offset1:136
	v_pk_mul_f32 v[2:3], v[0:1], v[164:165] op_sel:[0,1]
	v_pk_fma_f32 v[38:39], v[24:25], v[164:165], v[36:37] op_sel:[0,0,1] op_sel_hi:[1,1,0] neg_lo:[0,0,1] neg_hi:[0,0,1]
	v_pk_fma_f32 v[30:31], v[0:1], v[164:165], v[2:3] op_sel:[0,0,1] op_sel_hi:[1,1,0] neg_lo:[0,0,1] neg_hi:[0,0,1]
	v_pk_fma_f32 v[0:1], v[0:1], v[164:165], v[2:3] op_sel:[0,0,1] op_sel_hi:[1,0,0]
	v_pk_fma_f32 v[24:25], v[24:25], v[164:165], v[36:37] op_sel:[0,0,1] op_sel_hi:[1,0,0]
	v_mov_b32_e32 v31, v1
	v_pk_mul_f32 v[0:1], v[26:27], v[164:165] op_sel:[0,1]
	s_waitcnt lgkmcnt(0)
	v_pk_add_f32 v[30:31], v[22:23], v[30:31] neg_lo:[0,1] neg_hi:[0,1]
	v_pk_fma_f32 v[2:3], v[26:27], v[164:165], v[0:1] op_sel:[0,0,1] op_sel_hi:[1,1,0] neg_lo:[0,0,1] neg_hi:[0,0,1]
	v_pk_fma_f32 v[0:1], v[26:27], v[164:165], v[0:1] op_sel:[0,0,1] op_sel_hi:[1,0,0]
	v_pk_fma_f32 v[32:33], v[22:23], 2.0, v[30:31] op_sel_hi:[1,0,1] neg_lo:[0,0,1] neg_hi:[0,0,1]
	v_mov_b32_e32 v3, v1
	v_pk_add_f32 v[26:27], v[20:21], v[2:3] neg_lo:[0,1] neg_hi:[0,1]
	ds_read2_b64 v[0:3], v15 offset0:96 offset1:152
	v_pk_fma_f32 v[34:35], v[20:21], 2.0, v[26:27] op_sel_hi:[1,0,1] neg_lo:[0,0,1] neg_hi:[0,0,1]
	ds_read2_b64 v[20:23], v5 offset0:160 offset1:216
	v_mov_b32_e32 v39, v25
	v_pk_fma_f32 v[16:17], v[16:17], 2.0, v[28:29] op_sel_hi:[1,0,1] neg_lo:[0,0,1] neg_hi:[0,0,1]
	s_waitcnt lgkmcnt(1)
	v_pk_add_f32 v[36:37], v[2:3], v[38:39] neg_lo:[0,1] neg_hi:[0,1]
	s_waitcnt lgkmcnt(0)
	v_pk_mul_f32 v[44:45], v[20:21], v[164:165] op_sel:[0,1]
	v_pk_fma_f32 v[38:39], v[2:3], 2.0, v[36:37] op_sel_hi:[1,0,1] neg_lo:[0,0,1] neg_hi:[0,0,1]
	v_pk_mul_f32 v[2:3], v[22:23], v[164:165] op_sel:[0,1]
	v_pk_fma_f32 v[46:47], v[20:21], v[164:165], v[44:45] op_sel:[0,0,1] op_sel_hi:[1,1,0] neg_lo:[0,0,1] neg_hi:[0,0,1]
	v_pk_fma_f32 v[24:25], v[22:23], v[164:165], v[2:3] op_sel:[0,0,1] op_sel_hi:[1,1,0] neg_lo:[0,0,1] neg_hi:[0,0,1]
	v_pk_fma_f32 v[2:3], v[22:23], v[164:165], v[2:3] op_sel:[0,0,1] op_sel_hi:[1,0,0]
	v_pk_fma_f32 v[20:21], v[20:21], v[164:165], v[44:45] op_sel:[0,0,1] op_sel_hi:[1,0,0]
	v_mov_b32_e32 v25, v3
	v_pk_add_f32 v[40:41], v[0:1], v[24:25] neg_lo:[0,1] neg_hi:[0,1]
	ds_read2_b64 v[22:25], v5 offset0:48 offset1:104
	v_pk_fma_f32 v[42:43], v[0:1], 2.0, v[40:41] op_sel_hi:[1,0,1] neg_lo:[0,0,1] neg_hi:[0,0,1]
	ds_read2_b64 v[0:3], v108 offset0:112 offset1:168
	v_mov_b32_e32 v47, v21
	s_waitcnt lgkmcnt(1)
	v_pk_mul_f32 v[48:49], v[22:23], v[164:165] op_sel:[0,1]
	s_nop 0
	v_pk_fma_f32 v[50:51], v[22:23], v[164:165], v[48:49] op_sel:[0,0,1] op_sel_hi:[1,1,0] neg_lo:[0,0,1] neg_hi:[0,0,1]
	s_waitcnt lgkmcnt(0)
	v_pk_add_f32 v[20:21], v[2:3], v[46:47] neg_lo:[0,1] neg_hi:[0,1]
	v_pk_fma_f32 v[22:23], v[22:23], v[164:165], v[48:49] op_sel:[0,0,1] op_sel_hi:[1,0,0]
	v_pk_fma_f32 v[44:45], v[2:3], 2.0, v[20:21] op_sel_hi:[1,0,1] neg_lo:[0,0,1] neg_hi:[0,0,1]
	v_pk_mul_f32 v[2:3], v[24:25], v[164:165] op_sel:[0,1]
	v_mov_b32_e32 v51, v23
	v_pk_fma_f32 v[46:47], v[24:25], v[164:165], v[2:3] op_sel:[0,0,1] op_sel_hi:[1,1,0] neg_lo:[0,0,1] neg_hi:[0,0,1]
	v_pk_fma_f32 v[2:3], v[24:25], v[164:165], v[2:3] op_sel:[0,0,1] op_sel_hi:[1,0,0]
	v_pk_mul_f32 v[48:49], v[18:19], v[164:165] op_sel:[0,1]
	v_mov_b32_e32 v47, v3
	v_pk_add_f32 v[24:25], v[0:1], v[46:47] neg_lo:[0,1] neg_hi:[0,1]
	s_nop 0
	v_pk_fma_f32 v[46:47], v[0:1], 2.0, v[24:25] op_sel_hi:[1,0,1] neg_lo:[0,0,1] neg_hi:[0,0,1]
	ds_read2_b64 v[0:3], v108 offset1:56
	s_waitcnt lgkmcnt(0)
	; wave barrier
	s_waitcnt lgkmcnt(0)
	v_pk_add_f32 v[22:23], v[2:3], v[50:51] neg_lo:[0,1] neg_hi:[0,1]
	v_pk_fma_f32 v[50:51], v[18:19], v[164:165], v[48:49] op_sel:[0,0,1] op_sel_hi:[1,1,0] neg_lo:[0,0,1] neg_hi:[0,0,1]
	v_pk_fma_f32 v[18:19], v[18:19], v[164:165], v[48:49] op_sel:[0,0,1] op_sel_hi:[1,0,0]
	v_pk_fma_f32 v[2:3], v[2:3], 2.0, v[22:23] op_sel_hi:[1,0,1] neg_lo:[0,0,1] neg_hi:[0,0,1]
	v_mov_b32_e32 v51, v19
	v_pk_add_f32 v[18:19], v[0:1], v[50:51] neg_lo:[0,1] neg_hi:[0,1]
	s_nop 0
	v_pk_fma_f32 v[0:1], v[0:1], 2.0, v[18:19] op_sel_hi:[1,0,1] neg_lo:[0,0,1] neg_hi:[0,0,1]
	ds_write2_b64 v58, v[0:1], v[18:19] offset1:4
	ds_write2_b64 v59, v[2:3], v[22:23] offset1:4
	;; [unrolled: 1-line block ×9, first 2 shown]
	v_and_b32_e32 v16, 7, v118
	v_lshlrev_b32_e32 v0, 3, v16
	s_waitcnt lgkmcnt(0)
	; wave barrier
	s_waitcnt lgkmcnt(0)
	global_load_dwordx2 v[150:151], v0, s[10:11] offset:48
	v_and_or_b32 v0, v13, s2, v16
	s_movk_i32 s2, 0xf0
	v_lshlrev_b32_e32 v58, 3, v0
	v_and_or_b32 v0, v52, s2, v16
	s_movk_i32 s2, 0x1f0
	v_lshlrev_b32_e32 v52, 3, v0
	v_and_or_b32 v0, v53, s2, v16
	v_lshlrev_b32_e32 v53, 3, v0
	v_and_or_b32 v0, v54, s2, v16
	s_movk_i32 s2, 0x3f0
	v_lshlrev_b32_e32 v54, 3, v0
	v_and_or_b32 v0, v55, s2, v16
	v_lshlrev_b32_e32 v55, 3, v0
	v_and_or_b32 v0, v56, s3, v16
	;; [unrolled: 2-line block ×3, first 2 shown]
	v_lshlrev_b32_e32 v59, 3, v0
	ds_read2_b64 v[0:3], v7 offset0:128 offset1:184
	v_and_or_b32 v13, v11, s2, v16
	v_lshlrev_b32_e32 v60, 3, v13
	v_and_or_b32 v13, v57, s2, v16
	ds_read2_b64 v[16:19], v14 offset0:192 offset1:248
	ds_read2_b64 v[24:27], v7 offset0:16 offset1:72
	v_lshlrev_b32_e32 v13, 3, v13
	v_accvgpr_write_b32 a9, v13
	v_accvgpr_write_b32 a2, v52
	;; [unrolled: 1-line block ×9, first 2 shown]
	s_mov_b32 s2, 0x3f5db3d7
	s_waitcnt vmcnt(0) lgkmcnt(2)
	v_pk_mul_f32 v[20:21], v[2:3], v[150:151] op_sel:[0,1]
	s_nop 0
	v_pk_fma_f32 v[22:23], v[2:3], v[150:151], v[20:21] op_sel:[0,0,1] op_sel_hi:[1,1,0] neg_lo:[0,0,1] neg_hi:[0,0,1]
	v_pk_fma_f32 v[2:3], v[2:3], v[150:151], v[20:21] op_sel:[0,0,1] op_sel_hi:[1,0,0]
	s_waitcnt lgkmcnt(0)
	v_pk_mul_f32 v[36:37], v[24:25], v[150:151] op_sel:[0,1]
	v_mov_b32_e32 v23, v3
	v_pk_add_f32 v[28:29], v[16:17], v[22:23] neg_lo:[0,1] neg_hi:[0,1]
	ds_read2_b64 v[20:23], v14 offset0:80 offset1:136
	v_pk_mul_f32 v[2:3], v[0:1], v[150:151] op_sel:[0,1]
	v_pk_fma_f32 v[38:39], v[24:25], v[150:151], v[36:37] op_sel:[0,0,1] op_sel_hi:[1,1,0] neg_lo:[0,0,1] neg_hi:[0,0,1]
	v_pk_fma_f32 v[30:31], v[0:1], v[150:151], v[2:3] op_sel:[0,0,1] op_sel_hi:[1,1,0] neg_lo:[0,0,1] neg_hi:[0,0,1]
	v_pk_fma_f32 v[0:1], v[0:1], v[150:151], v[2:3] op_sel:[0,0,1] op_sel_hi:[1,0,0]
	v_pk_fma_f32 v[24:25], v[24:25], v[150:151], v[36:37] op_sel:[0,0,1] op_sel_hi:[1,0,0]
	v_mov_b32_e32 v31, v1
	v_pk_mul_f32 v[0:1], v[26:27], v[150:151] op_sel:[0,1]
	s_waitcnt lgkmcnt(0)
	v_pk_add_f32 v[30:31], v[22:23], v[30:31] neg_lo:[0,1] neg_hi:[0,1]
	v_pk_fma_f32 v[2:3], v[26:27], v[150:151], v[0:1] op_sel:[0,0,1] op_sel_hi:[1,1,0] neg_lo:[0,0,1] neg_hi:[0,0,1]
	v_pk_fma_f32 v[0:1], v[26:27], v[150:151], v[0:1] op_sel:[0,0,1] op_sel_hi:[1,0,0]
	v_pk_fma_f32 v[32:33], v[22:23], 2.0, v[30:31] op_sel_hi:[1,0,1] neg_lo:[0,0,1] neg_hi:[0,0,1]
	v_mov_b32_e32 v3, v1
	v_pk_add_f32 v[26:27], v[20:21], v[2:3] neg_lo:[0,1] neg_hi:[0,1]
	ds_read2_b64 v[0:3], v15 offset0:96 offset1:152
	v_pk_fma_f32 v[34:35], v[20:21], 2.0, v[26:27] op_sel_hi:[1,0,1] neg_lo:[0,0,1] neg_hi:[0,0,1]
	ds_read2_b64 v[20:23], v5 offset0:160 offset1:216
	v_mov_b32_e32 v39, v25
	v_pk_fma_f32 v[16:17], v[16:17], 2.0, v[28:29] op_sel_hi:[1,0,1] neg_lo:[0,0,1] neg_hi:[0,0,1]
	s_waitcnt lgkmcnt(1)
	v_pk_add_f32 v[36:37], v[2:3], v[38:39] neg_lo:[0,1] neg_hi:[0,1]
	s_waitcnt lgkmcnt(0)
	v_pk_mul_f32 v[44:45], v[20:21], v[150:151] op_sel:[0,1]
	v_pk_fma_f32 v[38:39], v[2:3], 2.0, v[36:37] op_sel_hi:[1,0,1] neg_lo:[0,0,1] neg_hi:[0,0,1]
	v_pk_mul_f32 v[2:3], v[22:23], v[150:151] op_sel:[0,1]
	v_pk_fma_f32 v[46:47], v[20:21], v[150:151], v[44:45] op_sel:[0,0,1] op_sel_hi:[1,1,0] neg_lo:[0,0,1] neg_hi:[0,0,1]
	v_pk_fma_f32 v[24:25], v[22:23], v[150:151], v[2:3] op_sel:[0,0,1] op_sel_hi:[1,1,0] neg_lo:[0,0,1] neg_hi:[0,0,1]
	v_pk_fma_f32 v[2:3], v[22:23], v[150:151], v[2:3] op_sel:[0,0,1] op_sel_hi:[1,0,0]
	v_pk_fma_f32 v[20:21], v[20:21], v[150:151], v[44:45] op_sel:[0,0,1] op_sel_hi:[1,0,0]
	v_mov_b32_e32 v25, v3
	v_pk_add_f32 v[40:41], v[0:1], v[24:25] neg_lo:[0,1] neg_hi:[0,1]
	ds_read2_b64 v[22:25], v5 offset0:48 offset1:104
	v_pk_fma_f32 v[42:43], v[0:1], 2.0, v[40:41] op_sel_hi:[1,0,1] neg_lo:[0,0,1] neg_hi:[0,0,1]
	ds_read2_b64 v[0:3], v108 offset0:112 offset1:168
	v_mov_b32_e32 v47, v21
	s_waitcnt lgkmcnt(1)
	v_pk_mul_f32 v[48:49], v[22:23], v[150:151] op_sel:[0,1]
	s_nop 0
	v_pk_fma_f32 v[50:51], v[22:23], v[150:151], v[48:49] op_sel:[0,0,1] op_sel_hi:[1,1,0] neg_lo:[0,0,1] neg_hi:[0,0,1]
	s_waitcnt lgkmcnt(0)
	v_pk_add_f32 v[20:21], v[2:3], v[46:47] neg_lo:[0,1] neg_hi:[0,1]
	v_pk_fma_f32 v[22:23], v[22:23], v[150:151], v[48:49] op_sel:[0,0,1] op_sel_hi:[1,0,0]
	v_pk_fma_f32 v[44:45], v[2:3], 2.0, v[20:21] op_sel_hi:[1,0,1] neg_lo:[0,0,1] neg_hi:[0,0,1]
	v_pk_mul_f32 v[2:3], v[24:25], v[150:151] op_sel:[0,1]
	v_mov_b32_e32 v51, v23
	v_pk_fma_f32 v[46:47], v[24:25], v[150:151], v[2:3] op_sel:[0,0,1] op_sel_hi:[1,1,0] neg_lo:[0,0,1] neg_hi:[0,0,1]
	v_pk_fma_f32 v[2:3], v[24:25], v[150:151], v[2:3] op_sel:[0,0,1] op_sel_hi:[1,0,0]
	v_pk_mul_f32 v[48:49], v[18:19], v[150:151] op_sel:[0,1]
	v_mov_b32_e32 v47, v3
	v_pk_add_f32 v[24:25], v[0:1], v[46:47] neg_lo:[0,1] neg_hi:[0,1]
	s_nop 0
	v_pk_fma_f32 v[46:47], v[0:1], 2.0, v[24:25] op_sel_hi:[1,0,1] neg_lo:[0,0,1] neg_hi:[0,0,1]
	ds_read2_b64 v[0:3], v108 offset1:56
	s_waitcnt lgkmcnt(0)
	; wave barrier
	s_waitcnt lgkmcnt(0)
	v_pk_add_f32 v[22:23], v[2:3], v[50:51] neg_lo:[0,1] neg_hi:[0,1]
	v_pk_fma_f32 v[50:51], v[18:19], v[150:151], v[48:49] op_sel:[0,0,1] op_sel_hi:[1,1,0] neg_lo:[0,0,1] neg_hi:[0,0,1]
	v_pk_fma_f32 v[18:19], v[18:19], v[150:151], v[48:49] op_sel:[0,0,1] op_sel_hi:[1,0,0]
	v_pk_fma_f32 v[2:3], v[2:3], 2.0, v[22:23] op_sel_hi:[1,0,1] neg_lo:[0,0,1] neg_hi:[0,0,1]
	v_mov_b32_e32 v51, v19
	v_pk_add_f32 v[18:19], v[0:1], v[50:51] neg_lo:[0,1] neg_hi:[0,1]
	s_nop 0
	v_pk_fma_f32 v[0:1], v[0:1], 2.0, v[18:19] op_sel_hi:[1,0,1] neg_lo:[0,0,1] neg_hi:[0,0,1]
	ds_write2_b64 v58, v[0:1], v[18:19] offset1:8
	ds_write2_b64 v52, v[2:3], v[22:23] offset1:8
	;; [unrolled: 1-line block ×9, first 2 shown]
	v_and_b32_e32 v13, 15, v118
	v_lshlrev_b32_e32 v0, 4, v13
	s_waitcnt lgkmcnt(0)
	; wave barrier
	s_waitcnt lgkmcnt(0)
	global_load_dwordx4 v[0:3], v0, s[10:11] offset:112
	v_and_b32_e32 v16, 15, v10
	v_lshlrev_b32_e32 v17, 4, v16
	global_load_dwordx4 v[24:27], v17, s[10:11] offset:112
	v_and_b32_e32 v20, 15, v12
	v_lshlrev_b32_e32 v17, 4, v20
	global_load_dwordx2 v[152:153], v17, s[10:11] offset:116
	global_load_dwordx2 v[158:159], v17, s[10:11] offset:112
	global_load_dword v180, v17, s[10:11] offset:124
	global_load_dwordx2 v[160:161], v17, s[10:11] offset:120
	v_and_b32_e32 v17, 15, v6
	v_lshlrev_b32_e32 v18, 4, v17
	global_load_dword v162, v18, s[10:11] offset:112
	s_waitcnt vmcnt(6)
	v_mov_b32_e32 v154, v3
	v_lshrrev_b32_e32 v3, 4, v118
	v_mul_u32_u24_e32 v3, 48, v3
	v_or_b32_e32 v3, v3, v13
	v_lshlrev_b32_e32 v237, 3, v3
	v_lshrrev_b32_e32 v3, 4, v6
	v_mul_u32_u24_e32 v3, 48, v3
	v_or_b32_e32 v3, v3, v17
	v_lshlrev_b32_e32 v233, 3, v3
	;; [unrolled: 4-line block ×5, first 2 shown]
	v_lshrrev_b32_e32 v3, 4, v12
	ds_read2_b64 v[16:19], v5 offset0:48 offset1:104
	v_mul_u32_u24_e32 v3, 48, v3
	v_or_b32_e32 v3, v3, v20
	ds_read2_b64 v[20:23], v15 offset0:96 offset1:152
	ds_read2_b64 v[28:31], v7 offset0:128 offset1:184
	v_mov_b32_e32 v156, v0
	s_waitcnt vmcnt(4) lgkmcnt(2)
	v_pk_mul_f32 v[32:33], v[18:19], v[152:153] op_sel_hi:[1,0]
	v_mov_b32_e32 v170, v25
	s_waitcnt vmcnt(3)
	v_pk_fma_f32 v[40:41], v[18:19], v[158:159], v[32:33] op_sel:[0,0,1] op_sel_hi:[1,1,0] neg_lo:[0,0,1] neg_hi:[0,0,1]
	v_pk_fma_f32 v[18:19], v[18:19], v[158:159], v[32:33] op_sel:[0,0,1] op_sel_hi:[1,0,0]
	v_mov_b32_e32 v168, v27
	v_mov_b32_e32 v41, v19
	s_waitcnt vmcnt(2) lgkmcnt(0)
	v_pk_mul_f32 v[18:19], v[30:31], v[180:181] op_sel_hi:[1,0]
	v_lshlrev_b32_e32 v229, 3, v3
	s_waitcnt vmcnt(1)
	v_pk_fma_f32 v[42:43], v[30:31], v[160:161], v[18:19] op_sel:[0,0,1] op_sel_hi:[1,1,0] neg_lo:[0,0,1] neg_hi:[0,0,1]
	v_pk_fma_f32 v[18:19], v[30:31], v[160:161], v[18:19] op_sel:[0,0,1] op_sel_hi:[1,0,0]
	s_nop 0
	v_mov_b32_e32 v43, v19
	v_pk_add_f32 v[18:19], v[22:23], v[40:41]
	s_nop 0
	v_pk_add_f32 v[44:45], v[18:19], v[42:43]
	v_pk_mul_f32 v[18:19], v[16:17], v[0:1] op_sel:[0,1]
	s_nop 0
	v_pk_fma_f32 v[46:47], v[16:17], v[156:157], v[18:19] op_sel:[0,0,1] op_sel_hi:[1,1,0] neg_lo:[0,0,1] neg_hi:[0,0,1]
	v_pk_fma_f32 v[16:17], v[16:17], v[0:1], v[18:19] op_sel:[0,0,1] op_sel_hi:[1,0,0]
	s_nop 0
	v_mov_b32_e32 v47, v17
	v_pk_mul_f32 v[16:17], v[28:29], v[154:155] op_sel_hi:[1,0]
	s_nop 0
	v_pk_fma_f32 v[48:49], v[28:29], v[2:3], v[16:17] op_sel:[0,0,1] op_sel_hi:[1,1,0] neg_lo:[0,0,1] neg_hi:[0,0,1]
	v_pk_fma_f32 v[16:17], v[28:29], v[2:3], v[16:17] op_sel:[0,0,1] op_sel_hi:[1,0,0]
	v_pk_add_f32 v[28:29], v[20:21], v[46:47]
	v_mov_b32_e32 v49, v17
	ds_read2_b64 v[16:19], v14 offset0:192 offset1:248
	v_pk_add_f32 v[50:51], v[28:29], v[48:49]
	ds_read2_b64 v[28:31], v108 offset0:112 offset1:168
	ds_read2_b64 v[32:35], v7 offset0:16 offset1:72
	s_waitcnt lgkmcnt(2)
	v_pk_mul_f32 v[36:37], v[18:19], v[170:171] op_sel_hi:[1,0]
	s_nop 0
	v_pk_fma_f32 v[52:53], v[18:19], v[24:25], v[36:37] op_sel:[0,0,1] op_sel_hi:[1,1,0] neg_lo:[0,0,1] neg_hi:[0,0,1]
	v_pk_fma_f32 v[18:19], v[18:19], v[24:25], v[36:37] op_sel:[0,0,1] op_sel_hi:[1,0,0]
	s_nop 0
	v_mov_b32_e32 v53, v19
	s_waitcnt lgkmcnt(0)
	v_pk_mul_f32 v[18:19], v[34:35], v[168:169] op_sel_hi:[1,0]
	s_nop 0
	v_pk_fma_f32 v[54:55], v[34:35], v[26:27], v[18:19] op_sel:[0,0,1] op_sel_hi:[1,1,0] neg_lo:[0,0,1] neg_hi:[0,0,1]
	v_pk_fma_f32 v[18:19], v[34:35], v[26:27], v[18:19] op_sel:[0,0,1] op_sel_hi:[1,0,0]
	s_nop 0
	v_mov_b32_e32 v55, v19
	v_pk_add_f32 v[18:19], v[30:31], v[52:53]
	s_nop 0
	v_pk_add_f32 v[56:57], v[18:19], v[54:55]
	v_pk_mul_f32 v[18:19], v[16:17], v[0:1] op_sel:[0,1]
	s_nop 0
	v_pk_fma_f32 v[58:59], v[16:17], v[156:157], v[18:19] op_sel:[0,0,1] op_sel_hi:[1,1,0] neg_lo:[0,0,1] neg_hi:[0,0,1]
	v_pk_fma_f32 v[16:17], v[16:17], v[0:1], v[18:19] op_sel:[0,0,1] op_sel_hi:[1,0,0]
	s_nop 0
	v_mov_b32_e32 v59, v17
	v_pk_mul_f32 v[16:17], v[32:33], v[154:155] op_sel_hi:[1,0]
	s_nop 0
	v_pk_fma_f32 v[60:61], v[32:33], v[2:3], v[16:17] op_sel:[0,0,1] op_sel_hi:[1,1,0] neg_lo:[0,0,1] neg_hi:[0,0,1]
	v_pk_fma_f32 v[16:17], v[32:33], v[2:3], v[16:17] op_sel:[0,0,1] op_sel_hi:[1,0,0]
	v_pk_add_f32 v[32:33], v[28:29], v[58:59]
	v_mov_b32_e32 v61, v17
	ds_read2_b64 v[16:19], v14 offset0:80 offset1:136
	v_pk_add_f32 v[62:63], v[32:33], v[60:61]
	ds_read2_b64 v[32:35], v108 offset1:56
	ds_read2_b64 v[36:39], v5 offset0:160 offset1:216
	s_waitcnt lgkmcnt(0)
	; wave barrier
	s_waitcnt lgkmcnt(0)
	v_pk_mul_f32 v[64:65], v[18:19], v[158:159] op_sel:[0,1]
	s_waitcnt vmcnt(0)
	v_pk_fma_f32 v[66:67], v[18:19], v[162:163], v[64:65] op_sel:[0,0,1] op_sel_hi:[1,1,0] neg_lo:[0,0,1] neg_hi:[0,0,1]
	v_pk_fma_f32 v[18:19], v[18:19], v[162:163], v[64:65] op_sel:[0,0,1] op_sel_hi:[1,0,0]
	v_pk_mul_f32 v[64:65], v[38:39], v[160:161] op_sel:[0,1]
	v_mov_b32_e32 v18, v153
	v_mov_b32_e32 v67, v19
	v_pk_fma_f32 v[18:19], v[38:39], v[18:19], v[64:65] op_sel:[0,0,1] op_sel_hi:[1,1,0] neg_lo:[0,0,1] neg_hi:[0,0,1]
	v_pk_fma_f32 v[38:39], v[38:39], v[152:153], v[64:65] op_sel:[0,1,1] op_sel_hi:[1,1,0]
	v_pk_mul_f32 v[64:65], v[16:17], v[0:1] op_sel:[0,1]
	v_mov_b32_e32 v19, v39
	v_pk_fma_f32 v[68:69], v[16:17], v[156:157], v[64:65] op_sel:[0,0,1] op_sel_hi:[1,1,0] neg_lo:[0,0,1] neg_hi:[0,0,1]
	v_pk_fma_f32 v[16:17], v[16:17], v[0:1], v[64:65] op_sel:[0,0,1] op_sel_hi:[1,0,0]
	v_pk_add_f32 v[38:39], v[34:35], v[66:67]
	v_mov_b32_e32 v69, v17
	v_pk_mul_f32 v[16:17], v[36:37], v[154:155] op_sel_hi:[1,0]
	v_pk_add_f32 v[38:39], v[38:39], v[18:19]
	v_pk_fma_f32 v[64:65], v[36:37], v[2:3], v[16:17] op_sel:[0,0,1] op_sel_hi:[1,1,0] neg_lo:[0,0,1] neg_hi:[0,0,1]
	v_pk_fma_f32 v[16:17], v[36:37], v[2:3], v[16:17] op_sel:[0,0,1] op_sel_hi:[1,0,0]
	s_nop 0
	v_mov_b32_e32 v65, v17
	v_pk_add_f32 v[36:37], v[68:69], v[64:65]
	v_pk_add_f32 v[16:17], v[32:33], v[68:69]
	v_pk_fma_f32 v[32:33], v[36:37], 0.5, v[32:33] op_sel_hi:[1,0,1] neg_lo:[1,0,0] neg_hi:[1,0,0]
	v_pk_add_f32 v[36:37], v[68:69], v[64:65] neg_lo:[0,1] neg_hi:[0,1]
	v_pk_add_f32 v[16:17], v[16:17], v[64:65]
	v_pk_mul_f32 v[36:37], v[36:37], s[2:3] op_sel_hi:[1,0]
	s_nop 0
	v_pk_add_f32 v[64:65], v[32:33], v[36:37] op_sel:[0,1] op_sel_hi:[1,0]
	v_pk_add_f32 v[32:33], v[32:33], v[36:37] op_sel:[0,1] op_sel_hi:[1,0] neg_lo:[0,1] neg_hi:[0,1]
	v_mov_b32_e32 v36, v64
	v_mov_b32_e32 v37, v33
	ds_write2_b64 v237, v[16:17], v[36:37] offset1:16
	v_pk_add_f32 v[16:17], v[66:67], v[18:19]
	v_pk_add_f32 v[18:19], v[66:67], v[18:19] neg_lo:[0,1] neg_hi:[0,1]
	v_mov_b32_e32 v33, v65
	v_pk_fma_f32 v[16:17], v[16:17], 0.5, v[34:35] op_sel_hi:[1,0,1] neg_lo:[1,0,0] neg_hi:[1,0,0]
	v_pk_mul_f32 v[18:19], v[18:19], s[2:3] op_sel_hi:[1,0]
	ds_write_b64 v237, v[32:33] offset:256
	v_pk_add_f32 v[32:33], v[16:17], v[18:19] op_sel:[0,1] op_sel_hi:[1,0]
	v_pk_add_f32 v[16:17], v[16:17], v[18:19] op_sel:[0,1] op_sel_hi:[1,0] neg_lo:[0,1] neg_hi:[0,1]
	v_mov_b32_e32 v18, v32
	v_mov_b32_e32 v19, v17
	;; [unrolled: 1-line block ×3, first 2 shown]
	ds_write2_b64 v233, v[38:39], v[18:19] offset1:16
	ds_write_b64 v233, v[16:17] offset:256
	v_pk_add_f32 v[16:17], v[58:59], v[60:61]
	v_pk_add_f32 v[18:19], v[58:59], v[60:61] neg_lo:[0,1] neg_hi:[0,1]
	v_pk_fma_f32 v[16:17], v[16:17], 0.5, v[28:29] op_sel_hi:[1,0,1] neg_lo:[1,0,0] neg_hi:[1,0,0]
	v_pk_mul_f32 v[18:19], v[18:19], s[2:3] op_sel_hi:[1,0]
	v_mov_b32_e32 v37, v115
	v_pk_add_f32 v[28:29], v[16:17], v[18:19] op_sel:[0,1] op_sel_hi:[1,0]
	v_pk_add_f32 v[16:17], v[16:17], v[18:19] op_sel:[0,1] op_sel_hi:[1,0] neg_lo:[0,1] neg_hi:[0,1]
	v_mov_b32_e32 v18, v28
	v_mov_b32_e32 v19, v17
	;; [unrolled: 1-line block ×3, first 2 shown]
	ds_write2_b64 v228, v[62:63], v[18:19] offset1:16
	ds_write_b64 v228, v[16:17] offset:256
	v_pk_add_f32 v[16:17], v[52:53], v[54:55]
	v_pk_add_f32 v[18:19], v[52:53], v[54:55] neg_lo:[0,1] neg_hi:[0,1]
	v_pk_fma_f32 v[16:17], v[16:17], 0.5, v[30:31] op_sel_hi:[1,0,1] neg_lo:[1,0,0] neg_hi:[1,0,0]
	v_pk_mul_f32 v[18:19], v[18:19], s[2:3] op_sel_hi:[1,0]
	s_nop 0
	v_pk_add_f32 v[28:29], v[16:17], v[18:19] op_sel:[0,1] op_sel_hi:[1,0]
	v_pk_add_f32 v[16:17], v[16:17], v[18:19] op_sel:[0,1] op_sel_hi:[1,0] neg_lo:[0,1] neg_hi:[0,1]
	v_mov_b32_e32 v18, v28
	v_mov_b32_e32 v19, v17
	;; [unrolled: 1-line block ×3, first 2 shown]
	ds_write2_b64 v236, v[56:57], v[18:19] offset1:16
	ds_write_b64 v236, v[16:17] offset:256
	v_pk_add_f32 v[16:17], v[46:47], v[48:49]
	v_pk_add_f32 v[18:19], v[46:47], v[48:49] neg_lo:[0,1] neg_hi:[0,1]
	v_pk_fma_f32 v[16:17], v[16:17], 0.5, v[20:21] op_sel_hi:[1,0,1] neg_lo:[1,0,0] neg_hi:[1,0,0]
	v_pk_mul_f32 v[18:19], v[18:19], s[2:3] op_sel_hi:[1,0]
	s_nop 0
	v_pk_add_f32 v[20:21], v[16:17], v[18:19] op_sel:[0,1] op_sel_hi:[1,0]
	v_pk_add_f32 v[16:17], v[16:17], v[18:19] op_sel:[0,1] op_sel_hi:[1,0] neg_lo:[0,1] neg_hi:[0,1]
	v_mov_b32_e32 v18, v20
	v_mov_b32_e32 v19, v17
	ds_write2_b64 v232, v[50:51], v[18:19] offset1:16
	v_mov_b32_e32 v17, v21
	v_pk_add_f32 v[18:19], v[40:41], v[42:43] neg_lo:[0,1] neg_hi:[0,1]
	ds_write_b64 v232, v[16:17] offset:256
	v_pk_add_f32 v[16:17], v[40:41], v[42:43]
	v_pk_mul_f32 v[18:19], v[18:19], s[2:3] op_sel_hi:[1,0]
	s_movk_i32 s3, 0xab
	v_pk_fma_f32 v[16:17], v[16:17], 0.5, v[22:23] op_sel_hi:[1,0,1] neg_lo:[1,0,0] neg_hi:[1,0,0]
	v_mul_lo_u16_sdwa v0, v6, s3 dst_sel:DWORD dst_unused:UNUSED_PAD src0_sel:BYTE_0 src1_sel:DWORD
	v_pk_add_f32 v[20:21], v[16:17], v[18:19] op_sel:[0,1] op_sel_hi:[1,0]
	v_pk_add_f32 v[16:17], v[16:17], v[18:19] op_sel:[0,1] op_sel_hi:[1,0] neg_lo:[0,1] neg_hi:[0,1]
	v_lshrrev_b16_e32 v3, 13, v0
	v_mov_b32_e32 v19, v17
	v_mov_b32_e32 v17, v21
	v_mul_lo_u16_e32 v0, 48, v3
	ds_write_b64 v229, v[16:17] offset:256
	v_lshl_add_u64 v[16:17], v[118:119], 0, s[12:13]
	v_sub_u16_e32 v0, v6, v0
	v_cndmask_b32_e64 v61, v17, 0, vcc
	v_cndmask_b32_e32 v60, v16, v118, vcc
	v_and_b32_e32 v6, 0xff, v0
	v_mov_b32_e32 v18, v20
	v_lshl_add_u64 v[16:17], v[60:61], 4, s[10:11]
	v_lshlrev_b32_e32 v0, 4, v6
	ds_write2_b64 v229, v[44:45], v[18:19] offset1:16
	s_waitcnt lgkmcnt(0)
	; wave barrier
	s_waitcnt lgkmcnt(0)
	global_load_dwordx4 v[16:19], v[16:17], off offset:368
	s_nop 0
	global_load_dwordx4 v[20:23], v0, s[10:11] offset:368
	v_mul_lo_u16_sdwa v0, v4, s3 dst_sel:DWORD dst_unused:UNUSED_PAD src0_sel:BYTE_0 src1_sel:DWORD
	v_lshrrev_b16_e32 v25, 13, v0
	v_mul_lo_u16_sdwa v13, v10, s3 dst_sel:DWORD dst_unused:UNUSED_PAD src0_sel:BYTE_0 src1_sel:DWORD
	v_mul_lo_u16_e32 v0, 48, v25
	v_lshrrev_b16_e32 v61, 13, v13
	v_sub_u16_e32 v0, v4, v0
	v_mul_lo_u16_e32 v13, 48, v61
	v_and_b32_e32 v27, 0xff, v0
	v_sub_u16_e32 v10, v10, v13
	v_lshlrev_b32_e32 v0, 4, v27
	v_and_b32_e32 v10, 0xff, v10
	s_mov_b32 s3, 0xaaab
	v_lshlrev_b32_e32 v13, 4, v10
	global_load_dwordx4 v[28:31], v0, s[10:11] offset:368
	global_load_dwordx4 v[32:35], v13, s[10:11] offset:368
	v_mul_u32_u24_sdwa v0, v8, s3 dst_sel:DWORD dst_unused:UNUSED_PAD src0_sel:WORD_0 src1_sel:DWORD
	v_lshrrev_b32_e32 v90, 21, v0
	v_mul_lo_u16_e32 v0, 48, v90
	v_sub_u16_e32 v8, v8, v0
	v_lshlrev_b16_e32 v36, 4, v8
	v_lshl_add_u64 v[36:37], s[10:11], 0, v[36:37]
	v_mul_u32_u24_sdwa v0, v12, s3 dst_sel:DWORD dst_unused:UNUSED_PAD src0_sel:WORD_0 src1_sel:DWORD
	global_load_dwordx4 v[48:51], v[36:37], off offset:368
	v_lshrrev_b32_e32 v91, 21, v0
	v_mul_lo_u16_e32 v0, 48, v91
	v_sub_u16_e32 v92, v12, v0
	v_lshlrev_b16_e32 v12, 4, v92
	v_mov_b32_e32 v13, v115
	v_lshl_add_u64 v[12:13], s[10:11], 0, v[12:13]
	global_load_dwordx4 v[44:47], v[12:13], off offset:368
	ds_read2_b64 v[36:39], v5 offset0:48 offset1:104
	ds_read2_b64 v[40:43], v7 offset0:128 offset1:184
	;; [unrolled: 1-line block ×3, first 2 shown]
	v_cmp_lt_u16_e32 vcc, 47, v118
	s_load_dwordx2 s[12:13], s[0:1], 0x38
	s_movk_i32 s0, 0x90
	s_waitcnt vmcnt(5)
	v_mov_b32_e32 v174, v16
	s_waitcnt vmcnt(4)
	v_mov_b32_e32 v178, v20
	v_mov_b32_e32 v176, v23
	;; [unrolled: 1-line block ×3, first 2 shown]
	s_waitcnt vmcnt(3)
	v_mov_b32_e32 v184, v28
	s_waitcnt vmcnt(2)
	v_mov_b32_e32 v188, v32
	v_mov_b32_e32 v186, v35
	v_mov_b32_e32 v182, v31
	s_waitcnt vmcnt(1)
	v_mov_b32_e32 v190, v51
	s_waitcnt lgkmcnt(0)
	v_pk_mul_f32 v[12:13], v[36:37], v[48:49] op_sel:[0,1]
	s_waitcnt vmcnt(0)
	v_mov_b32_e32 v0, v47
	v_pk_fma_f32 v[52:53], v[36:37], v[48:49], v[12:13] op_sel:[1,0,0] op_sel_hi:[0,0,1] neg_lo:[0,0,1] neg_hi:[0,0,1]
	v_pk_fma_f32 v[12:13], v[36:37], v[48:49], v[12:13] op_sel:[1,0,0] op_sel_hi:[0,0,1]
	v_pk_mul_f32 v[36:37], v[40:41], v[190:191] op_sel_hi:[1,0]
	v_mov_b32_e32 v66, v53
	v_pk_fma_f32 v[54:55], v[40:41], v[50:51], v[36:37] op_sel:[1,0,0] op_sel_hi:[0,0,1] neg_lo:[0,0,1] neg_hi:[0,0,1]
	v_pk_fma_f32 v[36:37], v[40:41], v[50:51], v[36:37] op_sel:[1,0,0] op_sel_hi:[0,0,1]
	v_mov_b32_e32 v67, v12
	v_mov_b32_e32 v68, v55
	;; [unrolled: 1-line block ×5, first 2 shown]
	v_pk_add_f32 v[40:41], v[66:67], v[68:69]
	v_pk_add_f32 v[12:13], v[12:13], v[36:37] neg_lo:[0,1] neg_hi:[0,1]
	v_pk_fma_f32 v[40:41], v[40:41], 0.5, v[56:57] op_sel_hi:[1,0,1] neg_lo:[1,0,0] neg_hi:[1,0,0]
	v_pk_mul_f32 v[36:37], v[38:39], v[44:45] op_sel_hi:[1,0]
	v_pk_fma_f32 v[70:71], v[12:13], s[2:3], v[40:41] op_sel_hi:[1,0,1]
	v_pk_fma_f32 v[12:13], v[12:13], s[2:3], v[40:41] op_sel_hi:[1,0,1] neg_lo:[1,0,0] neg_hi:[1,0,0]
	v_pk_fma_f32 v[40:41], v[38:39], v[44:45], v[36:37] op_sel:[0,0,1] op_sel_hi:[1,1,0] neg_lo:[1,0,0] neg_hi:[1,0,0]
	v_pk_fma_f32 v[36:37], v[38:39], v[44:45], v[36:37] op_sel:[0,1,1] op_sel_hi:[1,1,0]
	v_pk_mul_f32 v[38:39], v[42:43], v[46:47] op_sel_hi:[1,0]
	v_mov_b32_e32 v37, v41
	v_pk_fma_f32 v[54:55], v[42:43], v[46:47], v[38:39] op_sel:[0,0,1] op_sel_hi:[1,1,0] neg_lo:[1,0,0] neg_hi:[1,0,0]
	v_pk_fma_f32 v[38:39], v[42:43], v[0:1], v[38:39] op_sel:[0,0,1] op_sel_hi:[1,0,0]
	v_mov_b32_e32 v40, v41
	v_mov_b32_e32 v41, v36
	;; [unrolled: 1-line block ×5, first 2 shown]
	v_pk_add_f32 v[54:55], v[40:41], v[42:43]
	v_mov_b32_e32 v0, 0x90
	v_pk_fma_f32 v[62:63], v[54:55], 0.5, v[58:59] op_sel_hi:[1,0,1] neg_lo:[1,0,0] neg_hi:[1,0,0]
	v_pk_add_f32 v[36:37], v[36:37], v[38:39] neg_lo:[0,1] neg_hi:[0,1]
	v_pk_add_f32 v[38:39], v[58:59], v[40:41]
	v_cndmask_b32_e32 v0, 0, v0, vcc
	v_pk_add_f32 v[54:55], v[38:39], v[42:43]
	v_pk_fma_f32 v[102:103], v[36:37], s[2:3], v[62:63] op_sel_hi:[1,0,1] neg_lo:[1,0,0] neg_hi:[1,0,0]
	v_pk_fma_f32 v[206:207], v[36:37], s[2:3], v[62:63] op_sel_hi:[1,0,1]
	v_add_lshl_u32 v239, v60, v0, 3
	v_mul_u32_u24_e32 v0, 0x90, v3
	ds_read2_b64 v[36:39], v14 offset0:192 offset1:248
	v_add_lshl_u32 v235, v0, v6, 3
	v_mul_u32_u24_e32 v0, 0x90, v25
	v_add_lshl_u32 v119, v0, v27, 3
	v_mul_u32_u24_e32 v0, 0x90, v61
	ds_read2_b64 v[40:43], v108 offset0:112 offset1:168
	ds_read2_b64 v[58:61], v7 offset0:16 offset1:72
	s_waitcnt lgkmcnt(2)
	v_pk_mul_f32 v[62:63], v[38:39], v[32:33] op_sel:[0,1]
	v_add_lshl_u32 v115, v0, v10, 3
	v_pk_fma_f32 v[72:73], v[38:39], v[188:189], v[62:63] op_sel:[0,0,1] op_sel_hi:[1,1,0] neg_lo:[0,0,1] neg_hi:[0,0,1]
	v_pk_fma_f32 v[38:39], v[38:39], v[32:33], v[62:63] op_sel:[0,0,1] op_sel_hi:[1,0,0]
	v_mad_legacy_u16 v0, v90, s0, v8
	v_mov_b32_e32 v73, v39
	s_waitcnt lgkmcnt(0)
	v_pk_mul_f32 v[38:39], v[60:61], v[186:187] op_sel_hi:[1,0]
	v_lshlrev_b32_e32 v242, 3, v0
	v_pk_fma_f32 v[74:75], v[60:61], v[34:35], v[38:39] op_sel:[0,0,1] op_sel_hi:[1,1,0] neg_lo:[0,0,1] neg_hi:[0,0,1]
	v_pk_fma_f32 v[38:39], v[60:61], v[34:35], v[38:39] op_sel:[0,0,1] op_sel_hi:[1,0,0]
	v_mad_legacy_u16 v0, v91, s0, v92
	v_mov_b32_e32 v75, v39
	v_pk_add_f32 v[38:39], v[42:43], v[72:73]
	v_mov_b32_e32 v52, v12
	v_pk_add_f32 v[76:77], v[38:39], v[74:75]
	v_pk_mul_f32 v[38:39], v[36:37], v[28:29] op_sel:[0,1]
	v_mov_b32_e32 v53, v71
	v_pk_fma_f32 v[78:79], v[36:37], v[184:185], v[38:39] op_sel:[0,0,1] op_sel_hi:[1,1,0] neg_lo:[0,0,1] neg_hi:[0,0,1]
	v_pk_fma_f32 v[36:37], v[36:37], v[28:29], v[38:39] op_sel:[0,0,1] op_sel_hi:[1,0,0]
	v_mov_b32_e32 v71, v13
	v_mov_b32_e32 v79, v37
	v_pk_mul_f32 v[36:37], v[58:59], v[182:183] op_sel_hi:[1,0]
	v_lshlrev_b32_e32 v243, 3, v0
	v_pk_fma_f32 v[80:81], v[58:59], v[30:31], v[36:37] op_sel:[0,0,1] op_sel_hi:[1,1,0] neg_lo:[0,0,1] neg_hi:[0,0,1]
	v_pk_fma_f32 v[36:37], v[58:59], v[30:31], v[36:37] op_sel:[0,0,1] op_sel_hi:[1,0,0]
	v_pk_add_f32 v[58:59], v[40:41], v[78:79]
	v_mov_b32_e32 v81, v37
	ds_read2_b64 v[36:39], v14 offset0:80 offset1:136
	v_pk_add_f32 v[82:83], v[58:59], v[80:81]
	ds_read2_b64 v[58:61], v108 offset1:56
	ds_read2_b64 v[62:65], v5 offset0:160 offset1:216
	s_waitcnt lgkmcnt(0)
	; wave barrier
	s_waitcnt lgkmcnt(0)
	v_pk_mul_f32 v[84:85], v[38:39], v[20:21] op_sel:[0,1]
	v_mov_b32_e32 v12, v206
	v_pk_fma_f32 v[86:87], v[38:39], v[178:179], v[84:85] op_sel:[0,0,1] op_sel_hi:[1,1,0] neg_lo:[0,0,1] neg_hi:[0,0,1]
	v_pk_fma_f32 v[38:39], v[38:39], v[20:21], v[84:85] op_sel:[0,0,1] op_sel_hi:[1,0,0]
	v_mov_b32_e32 v13, v103
	v_mov_b32_e32 v87, v39
	v_pk_mul_f32 v[38:39], v[64:65], v[176:177] op_sel_hi:[1,0]
	v_add_u32_e32 v0, 0x1400, v108
	v_pk_fma_f32 v[84:85], v[64:65], v[22:23], v[38:39] op_sel:[0,0,1] op_sel_hi:[1,1,0] neg_lo:[0,0,1] neg_hi:[0,0,1]
	v_pk_fma_f32 v[38:39], v[64:65], v[22:23], v[38:39] op_sel:[0,0,1] op_sel_hi:[1,0,0]
	v_pk_mul_f32 v[64:65], v[36:37], v[16:17] op_sel:[0,1]
	v_mov_b32_e32 v85, v39
	v_pk_fma_f32 v[88:89], v[36:37], v[174:175], v[64:65] op_sel:[0,0,1] op_sel_hi:[1,1,0] neg_lo:[0,0,1] neg_hi:[0,0,1]
	v_pk_fma_f32 v[36:37], v[36:37], v[16:17], v[64:65] op_sel:[0,0,1] op_sel_hi:[1,0,0]
	v_pk_add_f32 v[38:39], v[60:61], v[86:87]
	v_mov_b32_e32 v89, v37
	v_pk_mul_f32 v[36:37], v[62:63], v[172:173] op_sel_hi:[1,0]
	v_pk_add_f32 v[38:39], v[38:39], v[84:85]
	v_pk_fma_f32 v[64:65], v[62:63], v[18:19], v[36:37] op_sel:[0,0,1] op_sel_hi:[1,1,0] neg_lo:[0,0,1] neg_hi:[0,0,1]
	v_pk_fma_f32 v[36:37], v[62:63], v[18:19], v[36:37] op_sel:[0,0,1] op_sel_hi:[1,0,0]
	v_cmp_gt_u16_e32 vcc, 32, v118
	v_mov_b32_e32 v65, v37
	v_pk_add_f32 v[62:63], v[88:89], v[64:65]
	v_pk_add_f32 v[36:37], v[58:59], v[88:89]
	v_pk_fma_f32 v[58:59], v[62:63], 0.5, v[58:59] op_sel_hi:[1,0,1] neg_lo:[1,0,0] neg_hi:[1,0,0]
	v_pk_add_f32 v[62:63], v[88:89], v[64:65] neg_lo:[0,1] neg_hi:[0,1]
	v_pk_add_f32 v[36:37], v[36:37], v[64:65]
	v_pk_mul_f32 v[62:63], v[62:63], s[2:3] op_sel_hi:[1,0]
	v_cmp_lt_u16_e64 s[0:1], 31, v118
	v_pk_add_f32 v[64:65], v[58:59], v[62:63] op_sel:[0,1] op_sel_hi:[1,0]
	v_pk_add_f32 v[58:59], v[58:59], v[62:63] op_sel:[0,1] op_sel_hi:[1,0] neg_lo:[0,1] neg_hi:[0,1]
	v_mov_b32_e32 v62, v64
	v_mov_b32_e32 v63, v59
	v_mov_b32_e32 v59, v65
	ds_write2_b64 v239, v[36:37], v[62:63] offset1:48
	ds_write_b64 v239, v[58:59] offset:768
	v_pk_add_f32 v[36:37], v[86:87], v[84:85]
	v_pk_add_f32 v[58:59], v[86:87], v[84:85] neg_lo:[0,1] neg_hi:[0,1]
	v_pk_fma_f32 v[36:37], v[36:37], 0.5, v[60:61] op_sel_hi:[1,0,1] neg_lo:[1,0,0] neg_hi:[1,0,0]
	v_pk_mul_f32 v[58:59], v[58:59], s[2:3] op_sel_hi:[1,0]
	s_nop 0
	v_pk_add_f32 v[60:61], v[36:37], v[58:59] op_sel:[0,1] op_sel_hi:[1,0]
	v_pk_add_f32 v[36:37], v[36:37], v[58:59] op_sel:[0,1] op_sel_hi:[1,0] neg_lo:[0,1] neg_hi:[0,1]
	v_mov_b32_e32 v58, v60
	v_mov_b32_e32 v59, v37
	v_mov_b32_e32 v37, v61
	ds_write2_b64 v235, v[38:39], v[58:59] offset1:48
	ds_write_b64 v235, v[36:37] offset:768
	v_pk_add_f32 v[36:37], v[78:79], v[80:81]
	v_pk_add_f32 v[38:39], v[78:79], v[80:81] neg_lo:[0,1] neg_hi:[0,1]
	v_pk_fma_f32 v[36:37], v[36:37], 0.5, v[40:41] op_sel_hi:[1,0,1] neg_lo:[1,0,0] neg_hi:[1,0,0]
	v_pk_mul_f32 v[38:39], v[38:39], s[2:3] op_sel_hi:[1,0]
	s_nop 0
	;; [unrolled: 12-line block ×3, first 2 shown]
	v_pk_add_f32 v[40:41], v[36:37], v[38:39] op_sel:[0,1] op_sel_hi:[1,0]
	v_pk_add_f32 v[36:37], v[36:37], v[38:39] op_sel:[0,1] op_sel_hi:[1,0] neg_lo:[0,1] neg_hi:[0,1]
	v_mov_b32_e32 v38, v40
	v_mov_b32_e32 v39, v37
	;; [unrolled: 1-line block ×3, first 2 shown]
	ds_write_b64 v115, v[36:37] offset:768
	v_pk_add_f32 v[36:37], v[56:57], v[66:67]
	ds_write2_b64 v115, v[76:77], v[38:39] offset1:48
	v_pk_add_f32 v[36:37], v[36:37], v[68:69]
	ds_write2_b64 v242, v[36:37], v[70:71] offset1:48
	ds_write_b64 v242, v[52:53] offset:768
	ds_write2_b64 v243, v[54:55], v[12:13] offset1:48
	v_mov_b32_e32 v12, v102
	v_mov_b32_e32 v13, v207
	ds_write_b64 v243, v[12:13] offset:768
	s_waitcnt lgkmcnt(0)
	; wave barrier
	s_waitcnt lgkmcnt(0)
	ds_read2_b64 v[72:75], v108 offset1:56
	ds_read2_b64 v[88:91], v14 offset0:32 offset1:88
	ds_read2_b64 v[80:83], v14 offset0:176 offset1:232
	;; [unrolled: 1-line block ×6, first 2 shown]
	s_and_saveexec_b64 s[2:3], s[0:1]
	s_xor_b64 s[2:3], exec, s[2:3]
	s_or_saveexec_b64 s[2:3], s[2:3]
                                        ; implicit-def: $vgpr106
                                        ; implicit-def: $vgpr216
                                        ; implicit-def: $vgpr212
                                        ; implicit-def: $vgpr214
                                        ; implicit-def: $vgpr218
	s_xor_b64 exec, exec, s[2:3]
	s_cbranch_execz .LBB0_3
; %bb.2:
	v_add_u32_e32 v0, 0x200, v108
	v_add_u32_e32 v3, 0xc00, v108
	ds_read2_b64 v[100:103], v3 offset0:16 offset1:160
	ds_read2_b64 v[52:55], v0 offset0:48 offset1:192
	v_add_u32_e32 v0, 0x1400, v108
	ds_read2_b64 v[104:107], v0 offset0:48 offset1:192
	ds_read_b64 v[212:213], v108 offset:7808
	s_waitcnt lgkmcnt(3)
	v_mov_b32_e32 v206, v100
	v_mov_b32_e32 v207, v103
	;; [unrolled: 1-line block ×3, first 2 shown]
	s_waitcnt lgkmcnt(1)
	v_mov_b32_e32 v216, v107
	s_waitcnt lgkmcnt(0)
	v_mov_b32_e32 v214, v213
	v_mov_b32_e32 v218, v105
.LBB0_3:
	s_or_b64 exec, exec, s[2:3]
	v_subrev_u32_e32 v0, 32, v118
	v_cndmask_b32_e32 v0, v0, v4, vcc
	v_mad_u64_u32 v[6:7], s[2:3], v118, 48, s[10:11]
	v_mul_hi_i32_i24_e32 v5, 48, v0
	v_mul_i32_i24_e32 v4, 48, v0
	global_load_dwordx4 v[64:67], v[6:7], off offset:1152
	global_load_dwordx4 v[60:63], v[6:7], off offset:1136
	;; [unrolled: 1-line block ×4, first 2 shown]
	v_lshl_add_u64 v[100:101], s[10:11], 0, v[4:5]
	global_load_dwordx4 v[40:43], v[6:7], off offset:3824
	global_load_dwordx4 v[36:39], v[6:7], off offset:3856
	;; [unrolled: 1-line block ×3, first 2 shown]
	s_nop 0
	global_load_dwordx4 v[4:7], v[100:101], off offset:1136
	v_lshlrev_b32_e32 v238, 3, v9
	v_lshlrev_b32_e32 v234, 3, v11
	global_load_dwordx4 v[8:11], v[100:101], off offset:1168
	s_mov_b32 s18, 0x3d64c772
	s_mov_b32 s19, 0x3f4a47b2
	;; [unrolled: 1-line block ×11, first 2 shown]
	v_mov_b32_e32 v204, v166
	v_mov_b32_e32 v205, v166
	v_mov_b32_e32 v166, v167
	v_mov_b32_e32 v202, v164
	v_mov_b32_e32 v203, v164
	v_mov_b32_e32 v164, v165
	v_mov_b32_e32 v200, v150
	v_mov_b32_e32 v201, v150
	v_mov_b32_e32 v150, v151
	v_mov_b32_e32 v196, v158
	v_mov_b32_e32 v197, v158
	v_mov_b32_e32 v198, v152
	v_mov_b32_e32 v199, v152
	v_mov_b32_e32 v194, v160
	v_mov_b32_e32 v195, v160
	v_mov_b32_e32 v181, v180
	v_mov_b32_e32 v157, v156
	v_mov_b32_e32 v0, v1
	v_mov_b32_e32 v3, v2
	v_mov_b32_e32 v155, v154
	v_mov_b32_e32 v25, v24
	v_mov_b32_e32 v171, v170
	v_mov_b32_e32 v27, v26
	v_mov_b32_e32 v169, v168
	v_mov_b32_e32 v163, v162
	v_mov_b32_e32 v158, v159
	v_mov_b32_e32 v152, v153
	v_mov_b32_e32 v160, v161
	v_mov_b32_e32 v192, v48
	v_mov_b32_e32 v193, v48
	v_mov_b32_e32 v48, v49
	v_mov_b32_e32 v51, v50
	v_mov_b32_e32 v191, v190
	v_mov_b32_e32 v189, v188
	v_mov_b32_e32 v32, v33
	v_mov_b32_e32 v35, v34
	v_mov_b32_e32 v187, v186
	v_mov_b32_e32 v185, v184
	v_mov_b32_e32 v28, v29
	v_mov_b32_e32 v31, v30
	v_mov_b32_e32 v183, v182
	v_mov_b32_e32 v179, v178
	v_mov_b32_e32 v20, v21
	v_mov_b32_e32 v23, v22
	v_mov_b32_e32 v177, v176
	v_mov_b32_e32 v175, v174
	v_mov_b32_e32 v16, v17
	v_mov_b32_e32 v19, v18
	v_mov_b32_e32 v173, v172
	s_waitcnt vmcnt(8) lgkmcnt(3)
	v_mul_f32_e32 v253, v93, v66
	s_waitcnt vmcnt(7)
	v_mul_f32_e32 v100, v89, v63
	s_waitcnt vmcnt(6) lgkmcnt(2)
	v_mul_f32_e32 v101, v85, v57
	v_fma_f32 v248, v88, v62, -v100
	v_fma_f32 v250, v84, v56, -v101
	s_waitcnt vmcnt(2)
	v_pk_mul_f32 v[100:101], v[206:207], v[12:13] op_sel:[1,0]
	v_mul_f32_e32 v105, v91, v43
	v_pk_fma_f32 v[220:221], v[102:103], v[12:13], v[100:101] op_sel:[0,0,1] op_sel_hi:[0,1,0]
	v_pk_fma_f32 v[222:223], v[102:103], v[12:13], v[100:101] op_sel:[0,0,1] op_sel_hi:[0,1,0] neg_lo:[0,0,1] neg_hi:[0,0,1]
	v_mov_b32_e32 v100, v15
	v_mov_b32_e32 v101, v14
	v_pk_mul_f32 v[218:219], v[218:219], v[100:101] op_sel_hi:[0,1]
	v_fma_f32 v210, v90, v42, -v105
	v_mov_b32_e32 v223, v221
	v_pk_fma_f32 v[220:221], v[104:105], v[14:15], v[218:219] op_sel_hi:[0,1,1]
	v_pk_fma_f32 v[104:105], v[104:105], v[14:15], v[218:219] op_sel_hi:[0,1,1] neg_lo:[0,0,1] neg_hi:[0,0,1]
	s_waitcnt vmcnt(1)
	v_pk_mul_f32 v[218:219], v[54:55], v[4:5] op_sel:[1,0]
	v_pk_mul_f32 v[102:103], v[102:103], v[6:7] op_sel:[1,0]
	v_mul_f32_e32 v107, v95, v70
	v_mov_b32_e32 v105, v221
	v_pk_fma_f32 v[220:221], v[54:55], v[4:5], v[218:219] op_sel:[0,0,1] op_sel_hi:[0,1,0]
	v_pk_fma_f32 v[54:55], v[54:55], v[4:5], v[218:219] op_sel:[0,0,1] op_sel_hi:[0,1,0] neg_lo:[0,0,1] neg_hi:[0,0,1]
	v_pk_fma_f32 v[218:219], v[206:207], v[6:7], v[102:103] op_sel:[0,0,1] op_sel_hi:[0,1,0]
	v_pk_fma_f32 v[102:103], v[206:207], v[6:7], v[102:103] op_sel:[0,0,1] op_sel_hi:[0,1,0] neg_lo:[0,0,1] neg_hi:[0,0,1]
	s_waitcnt vmcnt(0)
	v_pk_mul_f32 v[206:207], v[216:217], v[8:9] op_sel_hi:[0,1]
	v_mul_f32_e32 v213, v94, v71
	v_pk_fma_f32 v[216:217], v[106:107], v[8:9], v[206:207] op_sel:[0,0,1] op_sel_hi:[0,1,0]
	v_pk_fma_f32 v[206:207], v[106:107], v[8:9], v[206:207] op_sel:[0,0,1] op_sel_hi:[0,1,0] neg_lo:[0,0,1] neg_hi:[0,0,1]
	v_pk_mul_f32 v[214:215], v[214:215], v[10:11] op_sel_hi:[0,1]
	v_mov_b32_e32 v207, v217
	v_pk_fma_f32 v[216:217], v[212:213], v[10:11], v[214:215] op_sel:[0,0,1] op_sel_hi:[0,1,0]
	v_pk_fma_f32 v[214:215], v[212:213], v[10:11], v[214:215] op_sel:[0,0,1] op_sel_hi:[0,1,0] neg_lo:[0,0,1] neg_hi:[0,0,1]
	v_mov_b32_e32 v55, v221
	v_mov_b32_e32 v103, v219
	;; [unrolled: 1-line block ×3, first 2 shown]
	v_pk_add_f32 v[216:217], v[54:55], v[214:215]
	v_pk_add_f32 v[54:55], v[54:55], v[214:215] neg_lo:[0,1] neg_hi:[0,1]
	v_pk_add_f32 v[214:215], v[102:103], v[206:207]
	v_pk_add_f32 v[102:103], v[102:103], v[206:207] neg_lo:[0,1] neg_hi:[0,1]
	;; [unrolled: 2-line block ×3, first 2 shown]
	v_pk_add_f32 v[218:219], v[214:215], v[216:217]
	v_pk_add_f32 v[222:223], v[104:105], v[102:103] op_sel:[1,1] op_sel_hi:[0,0]
	v_pk_add_f32 v[230:231], v[104:105], v[102:103] op_sel:[1,1] op_sel_hi:[0,0] neg_lo:[0,1] neg_hi:[0,1]
	v_pk_add_f32 v[240:241], v[54:55], v[104:105] op_sel:[1,1] op_sel_hi:[0,0] neg_lo:[0,1] neg_hi:[0,1]
	v_mov_b32_e32 v104, v206
	v_mov_b32_e32 v105, v219
	;; [unrolled: 1-line block ×3, first 2 shown]
	v_pk_add_f32 v[220:221], v[214:215], v[216:217] neg_lo:[0,1] neg_hi:[0,1]
	v_pk_add_f32 v[216:217], v[216:217], v[206:207] neg_lo:[0,1] neg_hi:[0,1]
	;; [unrolled: 1-line block ×3, first 2 shown]
	v_pk_add_f32 v[102:103], v[102:103], v[54:55] op_sel:[1,1] op_sel_hi:[0,0] neg_lo:[0,1] neg_hi:[0,1]
	v_pk_add_f32 v[206:207], v[104:105], v[218:219]
	v_pk_add_f32 v[54:55], v[222:223], v[54:55] op_sel:[0,1] op_sel_hi:[1,0]
	v_pk_add_f32 v[104:105], v[52:53], v[206:207]
	v_pk_mul_f32 v[52:53], v[214:215], s[18:19] op_sel_hi:[1,0]
	v_pk_mul_f32 v[214:215], v[220:221], s[10:11] op_sel_hi:[1,0]
	;; [unrolled: 1-line block ×4, first 2 shown]
	s_mov_b32 s3, 0xbf4a47b2
	v_pk_mul_f32 v[218:219], v[102:103], s[14:15] op_sel_hi:[1,0]
	v_pk_fma_f32 v[244:245], v[206:207], s[16:17], v[104:105] op_sel_hi:[1,0,1] neg_lo:[1,0,0] neg_hi:[1,0,0]
	v_fmamk_f32 v247, v216, 0x3f4a47b2, v52
	v_pk_fma_f32 v[206:207], v[220:221], s[10:11], v[52:53] op_sel_hi:[1,0,1] neg_lo:[0,0,1] neg_hi:[0,0,1]
	v_fma_f32 v246, v216, s3, -v214
	v_fma_f32 v52, v217, s3, -v215
	v_pk_fma_f32 v[102:103], v[102:103], s[14:15], v[230:231] op_sel_hi:[1,0,1] neg_lo:[0,0,1] neg_hi:[0,0,1]
	v_fmac_f32_e32 v230, 0x3eae86e6, v240
	s_mov_b32 s3, 0xbeae86e6
	v_fmamk_f32 v215, v241, 0x3eae86e6, v231
	v_fma_f32 v214, v241, s3, -v219
	v_fma_f32 v220, v240, s3, -v218
	v_pk_add_f32 v[240:241], v[206:207], v[244:245]
	v_pk_fma_f32 v[54:55], v[54:55], s[2:3], v[102:103] op_sel_hi:[1,0,1]
	v_mov_b32_e32 v221, v230
	v_fmac_f32_e32 v53, 0x3f4a47b2, v217
	v_pk_add_f32 v[216:217], v[222:223], v[214:215] op_sel:[1,0]
	v_pk_add_f32 v[222:223], v[222:223], v[220:221] op_sel_hi:[0,1]
	v_pk_add_f32 v[214:215], v[240:241], v[54:55] neg_lo:[0,1] neg_hi:[0,1]
	v_pk_add_f32 v[220:221], v[240:241], v[54:55]
	s_waitcnt lgkmcnt(1)
	v_pk_mul_f32 v[240:241], v[96:97], v[60:61] op_sel_hi:[1,0]
	v_mul_f32_e32 v255, v92, v67
	v_pk_add_f32 v[206:207], v[52:53], v[244:245] op_sel:[0,1]
	v_pk_add_f32 v[218:219], v[246:247], v[244:245] op_sel_hi:[1,0]
	v_pk_fma_f32 v[244:245], v[96:97], v[60:61], v[240:241] op_sel:[0,1,1] op_sel_hi:[1,1,0]
	v_pk_fma_f32 v[96:97], v[96:97], v[60:61], v[240:241] op_sel:[0,1,1] op_sel_hi:[1,1,0] neg_lo:[1,0,0] neg_hi:[1,0,0]
	v_mov_b32_e32 v240, v89
	v_mov_b32_e32 v241, v92
	v_mov_b32_e32 v89, v93
	v_mov_b32_e32 v92, v63
	v_mov_b32_e32 v93, v67
	v_mov_b32_e32 v246, v62
	v_mov_b32_e32 v247, v66
	v_pk_mul_f32 v[88:89], v[88:89], v[92:93]
	v_mul_f32_e32 v249, v81, v64
	v_mul_f32_e32 v251, v80, v65
	v_pk_fma_f32 v[92:93], v[240:241], v[62:63], v[88:89]
	v_pk_fma_f32 v[88:89], v[240:241], v[246:247], v[88:89] neg_lo:[0,0,1] neg_hi:[0,0,1]
	v_mov_b32_e32 v240, v85
	v_mov_b32_e32 v241, v80
	;; [unrolled: 1-line block ×7, first 2 shown]
	v_pk_mul_f32 v[80:81], v[84:85], v[80:81]
	v_mov_b32_e32 v245, v97
	v_pk_fma_f32 v[84:85], v[240:241], v[56:57], v[80:81]
	v_pk_fma_f32 v[80:81], v[240:241], v[246:247], v[80:81] neg_lo:[0,0,1] neg_hi:[0,0,1]
	s_waitcnt lgkmcnt(0)
	v_pk_mul_f32 v[240:241], v[76:77], v[58:59] op_sel_hi:[1,0]
	v_mov_b32_e32 v80, v59
	v_pk_fma_f32 v[246:247], v[76:77], v[80:81], v[240:241] op_sel:[0,0,1] op_sel_hi:[1,0,0]
	v_pk_fma_f32 v[76:77], v[76:77], v[80:81], v[240:241] op_sel:[0,0,1] op_sel_hi:[1,0,0] neg_lo:[1,0,0] neg_hi:[1,0,0]
	v_mov_b32_e32 v93, v89
	v_mov_b32_e32 v85, v81
	;; [unrolled: 1-line block ×5, first 2 shown]
	v_pk_add_f32 v[230:231], v[248:249], v[250:251]
	v_pk_add_f32 v[240:241], v[244:245], v[246:247]
	v_pk_add_f32 v[244:245], v[244:245], v[246:247] neg_lo:[0,1] neg_hi:[0,1]
	v_pk_add_f32 v[246:247], v[92:93], v[84:85]
	v_pk_add_f32 v[76:77], v[252:253], v[254:255]
	v_pk_add_f32 v[84:85], v[92:93], v[84:85] neg_lo:[0,1] neg_hi:[0,1]
	v_mov_b32_e32 v92, v77
	v_mov_b32_e32 v93, v248
	v_mov_b32_e32 v96, v231
	v_mov_b32_e32 v97, v250
	v_mov_b32_e32 v80, v81
	v_mov_b32_e32 v81, v246
	v_mov_b32_e32 v88, v89
	v_mov_b32_e32 v89, v240
	v_pk_add_f32 v[92:93], v[92:93], v[96:97] neg_lo:[0,1] neg_hi:[0,1]
	v_pk_add_f32 v[254:255], v[230:231], v[76:77]
	v_pk_add_f32 v[224:225], v[80:81], v[88:89]
	v_mov_b32_e32 v250, v92
	v_mov_b32_e32 v251, v245
	;; [unrolled: 1-line block ×6, first 2 shown]
	v_pk_add_f32 v[250:251], v[250:251], v[84:85] neg_lo:[0,1] neg_hi:[0,1]
	s_mov_b32 s23, s20
	v_pk_add_f32 v[88:89], v[88:89], v[230:231] neg_lo:[0,1] neg_hi:[0,1]
	v_mov_b32_e32 v77, v255
	v_mov_b32_e32 v80, v224
	v_pk_add_f32 v[224:225], v[254:255], v[224:225]
	v_pk_add_f32 v[96:97], v[96:97], v[92:93] neg_lo:[0,1] neg_hi:[0,1]
	v_pk_mul_f32 v[250:251], v[250:251], s[22:23]
	v_pk_add_f32 v[252:253], v[84:85], v[92:93]
	v_pk_add_f32 v[80:81], v[76:77], v[80:81] neg_lo:[0,1] neg_hi:[0,1]
	v_pk_add_f32 v[72:73], v[72:73], v[224:225]
	v_pk_mul_f32 v[88:89], v[88:89], s[18:19]
	v_pk_mul_f32 v[248:249], v[96:97], s[20:21]
	v_pk_add_f32 v[252:253], v[252:253], v[244:245]
	v_pk_mul_f32 v[254:255], v[80:81], s[24:25]
	v_pk_fma_f32 v[224:225], v[224:225], s[16:17], v[72:73] op_sel_hi:[1,0,1] neg_lo:[1,0,0] neg_hi:[1,0,0]
	v_pk_fma_f32 v[80:81], v[80:81], s[24:25], v[88:89]
	v_pk_fma_f32 v[96:97], v[96:97], s[20:21], v[250:251]
	v_pk_add_f32 v[80:81], v[80:81], v[224:225]
	v_pk_fma_f32 v[96:97], v[252:253], s[2:3], v[96:97] op_sel_hi:[1,0,1]
	v_mov_b32_e32 v85, v93
	v_pk_add_f32 v[226:227], v[80:81], v[96:97]
	v_pk_add_f32 v[80:81], v[80:81], v[96:97] neg_lo:[0,1] neg_hi:[0,1]
	v_mov_b32_e32 v96, v226
	v_mov_b32_e32 v97, v81
	;; [unrolled: 1-line block ×4, first 2 shown]
	ds_write_b64 v108, v[96:97] offset:1152
	v_pk_add_f32 v[84:85], v[84:85], v[244:245] neg_lo:[0,1] neg_hi:[0,1]
	v_pk_add_f32 v[76:77], v[230:231], v[76:77] neg_lo:[0,1] neg_hi:[0,1]
	v_mov_b32_e32 v92, v254
	v_mov_b32_e32 v93, v89
	;; [unrolled: 1-line block ×6, first 2 shown]
	v_pk_fma_f32 v[92:93], v[76:77], s[10:11], v[92:93] op_sel_hi:[1,0,1] neg_lo:[1,0,1] neg_hi:[1,0,1]
	v_pk_fma_f32 v[96:97], v[84:85], s[14:15], v[96:97] op_sel_hi:[1,0,1] neg_lo:[1,0,1] neg_hi:[1,0,1]
	;; [unrolled: 1-line block ×4, first 2 shown]
	v_pk_add_f32 v[92:93], v[92:93], v[224:225]
	v_pk_fma_f32 v[96:97], v[252:253], s[2:3], v[96:97] op_sel_hi:[1,0,1]
	v_pk_add_f32 v[76:77], v[76:77], v[224:225]
	v_pk_fma_f32 v[84:85], v[252:253], s[2:3], v[84:85] op_sel_hi:[1,0,1]
	v_pk_add_f32 v[230:231], v[92:93], v[96:97]
	v_pk_add_f32 v[92:93], v[92:93], v[96:97] neg_lo:[0,1] neg_hi:[0,1]
	v_pk_add_f32 v[88:89], v[76:77], v[84:85] neg_lo:[0,1] neg_hi:[0,1]
	v_pk_add_f32 v[76:77], v[76:77], v[84:85]
	v_mov_b32_e32 v97, v93
	v_mov_b32_e32 v84, v88
	;; [unrolled: 1-line block ×10, first 2 shown]
	ds_write_b64 v108, v[92:93] offset:5760
	v_mov_b32_e32 v81, v227
	v_mov_b32_e32 v92, v42
	;; [unrolled: 1-line block ×3, first 2 shown]
	v_pk_mul_f32 v[90:91], v[90:91], v[94:95]
	v_mul_f32_e32 v211, v83, v68
	v_mul_f32_e32 v209, v82, v69
	;; [unrolled: 1-line block ×3, first 2 shown]
	ds_write_b64 v108, v[80:81] offset:6912
	v_pk_mul_f32 v[80:81], v[98:99], v[40:41] op_sel_hi:[1,0]
	v_pk_fma_f32 v[94:95], v[88:89], v[42:43], v[90:91]
	v_pk_fma_f32 v[88:89], v[88:89], v[92:93], v[90:91] neg_lo:[0,0,1] neg_hi:[0,0,1]
	v_mov_b32_e32 v90, v87
	v_mov_b32_e32 v91, v82
	;; [unrolled: 1-line block ×5, first 2 shown]
	ds_write_b64 v108, v[84:85] offset:3456
	v_pk_fma_f32 v[84:85], v[98:99], v[40:41], v[80:81] op_sel:[0,1,1] op_sel_hi:[1,1,0]
	v_pk_fma_f32 v[80:81], v[98:99], v[40:41], v[80:81] op_sel:[0,1,1] op_sel_hi:[1,1,0] neg_lo:[1,0,0] neg_hi:[1,0,0]
	v_mov_b32_e32 v92, v36
	v_mov_b32_e32 v93, v68
	v_pk_mul_f32 v[82:83], v[86:87], v[82:83]
	v_fma_f32 v208, v86, v36, -v208
	v_pk_fma_f32 v[86:87], v[90:91], v[36:37], v[82:83]
	v_pk_fma_f32 v[82:83], v[90:91], v[92:93], v[82:83] neg_lo:[0,0,1] neg_hi:[0,0,1]
	v_pk_mul_f32 v[90:91], v[78:79], v[38:39] op_sel_hi:[1,0]
	v_mov_b32_e32 v80, v39
	v_pk_fma_f32 v[92:93], v[78:79], v[80:81], v[90:91] op_sel:[0,0,1] op_sel_hi:[1,0,0]
	v_pk_fma_f32 v[78:79], v[78:79], v[80:81], v[90:91] op_sel:[0,0,1] op_sel_hi:[1,0,0] neg_lo:[1,0,0] neg_hi:[1,0,0]
	v_mov_b32_e32 v85, v81
	v_mov_b32_e32 v95, v89
	;; [unrolled: 1-line block ×6, first 2 shown]
	ds_write_b64 v108, v[76:77] offset:4608
	v_pk_add_f32 v[76:77], v[210:211], v[208:209]
	v_pk_add_f32 v[90:91], v[84:85], v[92:93]
	v_pk_add_f32 v[84:85], v[84:85], v[92:93] neg_lo:[0,1] neg_hi:[0,1]
	v_pk_add_f32 v[92:93], v[94:95], v[86:87]
	v_pk_add_f32 v[78:79], v[106:107], v[212:213]
	v_pk_add_f32 v[86:87], v[94:95], v[86:87] neg_lo:[0,1] neg_hi:[0,1]
	v_mov_b32_e32 v80, v79
	v_mov_b32_e32 v81, v210
	;; [unrolled: 1-line block ×8, first 2 shown]
	v_pk_add_f32 v[80:81], v[80:81], v[94:95] neg_lo:[0,1] neg_hi:[0,1]
	v_pk_add_f32 v[208:209], v[76:77], v[78:79]
	v_pk_add_f32 v[82:83], v[82:83], v[88:89]
	v_mov_b32_e32 v98, v80
	v_mov_b32_e32 v99, v85
	;; [unrolled: 1-line block ×6, first 2 shown]
	v_pk_add_f32 v[98:99], v[98:99], v[86:87] neg_lo:[0,1] neg_hi:[0,1]
	v_pk_add_f32 v[88:89], v[88:89], v[76:77] neg_lo:[0,1] neg_hi:[0,1]
	v_mov_b32_e32 v79, v209
	v_mov_b32_e32 v210, v82
	;; [unrolled: 1-line block ×3, first 2 shown]
	v_pk_add_f32 v[82:83], v[208:209], v[82:83]
	v_mov_b32_e32 v96, v230
	v_pk_add_f32 v[94:95], v[94:95], v[80:81] neg_lo:[0,1] neg_hi:[0,1]
	v_pk_mul_f32 v[98:99], v[98:99], s[22:23]
	v_pk_add_f32 v[106:107], v[86:87], v[80:81]
	v_pk_add_f32 v[210:211], v[78:79], v[210:211] neg_lo:[0,1] neg_hi:[0,1]
	v_pk_add_f32 v[74:75], v[74:75], v[82:83]
	v_pk_mul_f32 v[88:89], v[88:89], s[18:19]
	ds_write_b64 v108, v[96:97] offset:2304
	v_pk_mul_f32 v[96:97], v[94:95], s[20:21]
	v_pk_add_f32 v[106:107], v[106:107], v[84:85]
	v_pk_mul_f32 v[208:209], v[210:211], s[24:25]
	v_pk_fma_f32 v[82:83], v[82:83], s[16:17], v[74:75] op_sel_hi:[1,0,1] neg_lo:[1,0,0] neg_hi:[1,0,0]
	v_pk_fma_f32 v[210:211], v[210:211], s[24:25], v[88:89]
	v_pk_fma_f32 v[94:95], v[94:95], s[20:21], v[98:99]
	v_pk_add_f32 v[210:211], v[210:211], v[82:83]
	v_pk_fma_f32 v[94:95], v[106:107], s[2:3], v[94:95] op_sel_hi:[1,0,1]
	ds_write2_b64 v108, v[72:73], v[74:75] offset1:56
	v_pk_add_f32 v[212:213], v[210:211], v[94:95]
	v_pk_add_f32 v[94:95], v[210:211], v[94:95] neg_lo:[0,1] neg_hi:[0,1]
	v_mov_b32_e32 v72, v212
	v_mov_b32_e32 v73, v95
	;; [unrolled: 1-line block ×5, first 2 shown]
	ds_write_b64 v108, v[72:73] offset:1600
	v_pk_add_f32 v[72:73], v[86:87], v[84:85] neg_lo:[0,1] neg_hi:[0,1]
	v_pk_add_f32 v[74:75], v[76:77], v[78:79] neg_lo:[0,1] neg_hi:[0,1]
	v_mov_b32_e32 v76, v208
	v_mov_b32_e32 v77, v89
	v_mov_b32_e32 v78, v96
	v_mov_b32_e32 v79, v99
	v_pk_fma_f32 v[76:77], v[74:75], s[10:11], v[76:77] op_sel_hi:[1,0,1] neg_lo:[1,0,1] neg_hi:[1,0,1]
	v_pk_fma_f32 v[78:79], v[72:73], s[14:15], v[78:79] op_sel_hi:[1,0,1] neg_lo:[1,0,1] neg_hi:[1,0,1]
	v_pk_add_f32 v[76:77], v[76:77], v[82:83]
	v_pk_fma_f32 v[78:79], v[106:107], s[2:3], v[78:79] op_sel_hi:[1,0,1]
	v_mov_b32_e32 v89, v209
	v_mov_b32_e32 v99, v97
	v_pk_add_f32 v[80:81], v[76:77], v[78:79]
	v_pk_add_f32 v[76:77], v[76:77], v[78:79] neg_lo:[0,1] neg_hi:[0,1]
	v_pk_fma_f32 v[74:75], v[74:75], s[10:11], v[88:89] op_sel_hi:[1,0,1] neg_lo:[0,0,1] neg_hi:[0,0,1]
	v_pk_fma_f32 v[72:73], v[72:73], s[14:15], v[98:99] op_sel_hi:[1,0,1] neg_lo:[0,0,1] neg_hi:[0,0,1]
	v_mov_b32_e32 v78, v80
	v_mov_b32_e32 v79, v77
	v_pk_add_f32 v[74:75], v[74:75], v[82:83]
	v_pk_fma_f32 v[72:73], v[106:107], s[2:3], v[72:73] op_sel_hi:[1,0,1]
	ds_write_b64 v108, v[78:79] offset:2752
	v_pk_add_f32 v[78:79], v[74:75], v[72:73] neg_lo:[0,1] neg_hi:[0,1]
	v_pk_add_f32 v[72:73], v[74:75], v[72:73]
	v_mov_b32_e32 v52, v220
	v_mov_b32_e32 v53, v215
	v_pk_add_f32 v[54:55], v[218:219], v[222:223] neg_lo:[0,1] neg_hi:[0,1]
	v_pk_add_f32 v[102:103], v[216:217], v[206:207]
	v_mov_b32_e32 v74, v78
	v_mov_b32_e32 v75, v73
	;; [unrolled: 1-line block ×5, first 2 shown]
	ds_write_b64 v108, v[74:75] offset:3904
	ds_write_b64 v108, v[72:73] offset:5056
	;; [unrolled: 1-line block ×4, first 2 shown]
	s_and_saveexec_b64 s[2:3], vcc
	s_cbranch_execz .LBB0_5
; %bb.4:
	v_mov_b32_e32 v72, v223
	v_mov_b32_e32 v74, v219
	v_pk_add_f32 v[72:73], v[72:73], v[74:75]
	v_pk_add_f32 v[74:75], v[206:207], v[216:217] neg_lo:[0,1] neg_hi:[0,1]
	v_pk_add_f32 v[76:77], v[222:223], v[218:219]
	v_mov_b32_e32 v73, v75
	v_add_u32_e32 v74, 0x200, v108
	ds_write2_b64 v74, v[104:105], v[72:73] offset0:48 offset1:192
	v_mov_b32_e32 v73, v206
	v_mov_b32_e32 v74, v218
	;; [unrolled: 1-line block ×3, first 2 shown]
	v_pk_add_f32 v[72:73], v[72:73], v[74:75] neg_lo:[0,1] neg_hi:[0,1]
	v_mov_b32_e32 v215, v221
	v_mov_b32_e32 v77, v73
	v_add_u32_e32 v72, 0xc00, v108
	ds_write2_b64 v72, v[76:77], v[214:215] offset0:16 offset1:160
	v_mov_b32_e32 v72, v54
	v_mov_b32_e32 v73, v102
	v_add_u32_e32 v74, 0x1400, v108
	ds_write2_b64 v74, v[52:53], v[72:73] offset0:48 offset1:192
	v_mov_b32_e32 v72, v55
	v_mov_b32_e32 v73, v103
	ds_write_b64 v108, v[72:73] offset:7808
.LBB0_5:
	s_or_b64 exec, exec, s[2:3]
	s_add_u32 s8, s8, 0x1f80
	s_addc_u32 s9, s9, 0
	v_lshlrev_b32_e32 v78, 3, v118
	s_waitcnt lgkmcnt(0)
	; wave barrier
	s_waitcnt lgkmcnt(0)
	global_load_dwordx2 v[72:73], v78, s[8:9]
	ds_read2_b64 v[74:77], v108 offset1:56
	v_mov_b32_e32 v79, 0
	v_lshl_add_u64 v[80:81], s[8:9], 0, v[78:79]
	s_movk_i32 s2, 0x1000
	v_add_co_u32_e64 v80, s[2:3], s2, v80
	s_nop 1
	v_addc_co_u32_e64 v81, s[2:3], 0, v81, s[2:3]
	global_load_dwordx2 v[86:87], v[80:81], off offset:384
	s_mov_b32 s2, 0x3f5db3d7
	s_waitcnt vmcnt(1) lgkmcnt(0)
	v_mul_f32_e32 v79, v75, v73
	v_mul_f32_e32 v83, v74, v73
	v_fma_f32 v82, v74, v72, -v79
	v_fmac_f32_e32 v83, v75, v72
	ds_write_b64 v108, v[82:83]
	global_load_dwordx2 v[82:83], v78, s[8:9] offset:4032
	v_add_u32_e32 v79, 0x800, v108
	ds_read2_b64 v[72:75], v79 offset0:192 offset1:248
	s_waitcnt vmcnt(0) lgkmcnt(0)
	v_mul_f32_e32 v84, v75, v83
	v_mul_f32_e32 v85, v74, v83
	v_fma_f32 v84, v74, v82, -v84
	v_fmac_f32_e32 v85, v75, v82
	global_load_dwordx2 v[74:75], v78, s[8:9] offset:448
	s_waitcnt vmcnt(0)
	v_mul_f32_e32 v82, v77, v75
	v_fma_f32 v88, v76, v74, -v82
	v_mul_f32_e32 v89, v76, v75
	v_add_u32_e32 v82, 0x1000, v108
	v_fmac_f32_e32 v89, v77, v74
	ds_read2_b64 v[74:77], v82 offset0:48 offset1:104
	s_waitcnt lgkmcnt(0)
	v_mul_f32_e32 v83, v75, v87
	v_mul_f32_e32 v91, v74, v87
	v_fma_f32 v90, v74, v86, -v83
	v_fmac_f32_e32 v91, v75, v86
	v_add_u32_e32 v74, 0xc00, v108
	ds_write2_b64 v74, v[84:85], v[90:91] offset0:120 offset1:176
	global_load_dwordx2 v[74:75], v78, s[8:9] offset:896
	ds_read2_b64 v[84:87], v108 offset0:112 offset1:168
	s_waitcnt vmcnt(0) lgkmcnt(0)
	v_mul_f32_e32 v83, v85, v75
	v_mul_f32_e32 v91, v84, v75
	v_fma_f32 v90, v84, v74, -v83
	v_fmac_f32_e32 v91, v85, v74
	global_load_dwordx2 v[74:75], v[80:81], off offset:832
	ds_write2_b64 v108, v[88:89], v[90:91] offset0:56 offset1:112
	s_waitcnt vmcnt(0)
	v_mul_f32_e32 v83, v77, v75
	v_mul_f32_e32 v85, v76, v75
	v_fma_f32 v84, v76, v74, -v83
	v_fmac_f32_e32 v85, v77, v74
	global_load_dwordx2 v[74:75], v78, s[8:9] offset:1344
	s_waitcnt vmcnt(0)
	v_mul_f32_e32 v76, v87, v75
	v_mul_f32_e32 v91, v86, v75
	v_fma_f32 v90, v86, v74, -v76
	v_fmac_f32_e32 v91, v87, v74
	global_load_dwordx2 v[86:87], v[80:81], off offset:1280
	ds_read2_b64 v[74:77], v82 offset0:160 offset1:216
	s_waitcnt vmcnt(0) lgkmcnt(0)
	v_mul_f32_e32 v83, v75, v87
	v_mul_f32_e32 v89, v74, v87
	v_fma_f32 v88, v74, v86, -v83
	v_fmac_f32_e32 v89, v75, v86
	global_load_dwordx2 v[74:75], v78, s[8:9] offset:1792
	ds_write2_b64 v82, v[84:85], v[88:89] offset0:104 offset1:160
	v_add_u32_e32 v85, 0x400, v108
	ds_read2_b64 v[86:89], v85 offset0:96 offset1:152
	s_waitcnt vmcnt(0) lgkmcnt(0)
	v_mul_f32_e32 v83, v87, v75
	v_mul_f32_e32 v93, v86, v75
	v_fma_f32 v92, v86, v74, -v83
	v_fmac_f32_e32 v93, v87, v74
	global_load_dwordx2 v[74:75], v[80:81], off offset:1728
	ds_write2_b64 v108, v[90:91], v[92:93] offset0:168 offset1:224
	s_waitcnt vmcnt(0)
	v_mul_f32_e32 v83, v77, v75
	v_mul_f32_e32 v87, v76, v75
	v_fma_f32 v86, v76, v74, -v83
	v_fmac_f32_e32 v87, v77, v74
	global_load_dwordx2 v[74:75], v78, s[8:9] offset:2240
	v_add_u32_e32 v83, 0x1800, v108
	s_waitcnt vmcnt(0)
	v_mul_f32_e32 v76, v89, v75
	v_mul_f32_e32 v91, v88, v75
	v_fma_f32 v90, v88, v74, -v76
	v_fmac_f32_e32 v91, v89, v74
	global_load_dwordx2 v[88:89], v[80:81], off offset:2176
	ds_read2_b64 v[74:77], v83 offset0:16 offset1:72
	s_waitcnt vmcnt(0) lgkmcnt(0)
	v_mul_f32_e32 v84, v75, v89
	v_mul_f32_e32 v93, v74, v89
	v_fma_f32 v92, v74, v88, -v84
	v_fmac_f32_e32 v93, v75, v88
	global_load_dwordx2 v[74:75], v78, s[8:9] offset:2688
	v_add_u32_e32 v84, 0x1400, v108
	ds_write2_b64 v84, v[86:87], v[92:93] offset0:88 offset1:144
	ds_read2_b64 v[86:89], v79 offset0:80 offset1:136
	s_waitcnt vmcnt(0) lgkmcnt(0)
	v_mul_f32_e32 v92, v87, v75
	v_mul_f32_e32 v93, v86, v75
	v_fma_f32 v92, v86, v74, -v92
	v_fmac_f32_e32 v93, v87, v74
	global_load_dwordx2 v[74:75], v[80:81], off offset:2624
	ds_write2_b64 v79, v[90:91], v[92:93] offset0:24 offset1:80
	s_waitcnt vmcnt(0)
	v_mul_f32_e32 v86, v77, v75
	v_mul_f32_e32 v87, v76, v75
	v_fma_f32 v86, v76, v74, -v86
	v_fmac_f32_e32 v87, v77, v74
	global_load_dwordx2 v[74:75], v78, s[8:9] offset:3136
	s_waitcnt vmcnt(0)
	v_mul_f32_e32 v76, v89, v75
	v_fma_f32 v90, v88, v74, -v76
	v_mul_f32_e32 v91, v88, v75
	v_accvgpr_read_b32 v88, a35
	v_fmac_f32_e32 v91, v89, v74
	global_load_dwordx2 v[88:89], v88, s[8:9]
	ds_read2_b64 v[74:77], v83 offset0:128 offset1:184
	s_waitcnt vmcnt(0) lgkmcnt(0)
	v_mul_f32_e32 v92, v75, v89
	v_mul_f32_e32 v93, v74, v89
	v_fma_f32 v92, v74, v88, -v92
	v_fmac_f32_e32 v93, v75, v88
	global_load_dwordx2 v[74:75], v78, s[8:9] offset:3584
	ds_write2_b64 v83, v[86:87], v[92:93] offset0:72 offset1:128
	s_waitcnt vmcnt(0)
	v_mul_f32_e32 v78, v73, v75
	v_mul_f32_e32 v87, v72, v75
	v_fma_f32 v86, v72, v74, -v78
	v_fmac_f32_e32 v87, v73, v74
	global_load_dwordx2 v[72:73], v[80:81], off offset:3520
	ds_write2_b64 v79, v[90:91], v[86:87] offset0:136 offset1:192
	v_accvgpr_read_b32 v78, a19
	s_waitcnt vmcnt(0)
	v_mul_f32_e32 v74, v77, v73
	v_mul_f32_e32 v75, v76, v73
	v_fma_f32 v74, v76, v72, -v74
	v_fmac_f32_e32 v75, v77, v72
	ds_write_b64 v108, v[74:75] offset:7616
	s_waitcnt lgkmcnt(0)
	; wave barrier
	s_waitcnt lgkmcnt(0)
	ds_read2_b64 v[72:75], v108 offset1:56
	ds_read2_b64 v[86:89], v79 offset0:192 offset1:248
	ds_read2_b64 v[92:95], v82 offset0:48 offset1:104
	;; [unrolled: 1-line block ×5, first 2 shown]
	s_waitcnt lgkmcnt(4)
	v_pk_add_f32 v[90:91], v[72:73], v[88:89] neg_lo:[0,1] neg_hi:[0,1]
	s_waitcnt lgkmcnt(3)
	v_pk_add_f32 v[76:77], v[74:75], v[92:93] neg_lo:[0,1] neg_hi:[0,1]
	;; [unrolled: 2-line block ×4, first 2 shown]
	v_pk_fma_f32 v[92:93], v[96:97], 2.0, v[94:95] op_sel_hi:[1,0,1] neg_lo:[0,0,1] neg_hi:[0,0,1]
	v_pk_fma_f32 v[206:207], v[98:99], 2.0, v[208:209] op_sel_hi:[1,0,1] neg_lo:[0,0,1] neg_hi:[0,0,1]
	ds_read2_b64 v[96:99], v85 offset0:96 offset1:152
	ds_read2_b64 v[218:221], v83 offset0:128 offset1:184
	v_pk_fma_f32 v[88:89], v[72:73], 2.0, v[90:91] op_sel_hi:[1,0,1] neg_lo:[0,0,1] neg_hi:[0,0,1]
	v_accvgpr_read_b32 v72, a28
	v_pk_fma_f32 v[74:75], v[74:75], 2.0, v[76:77] op_sel_hi:[1,0,1] neg_lo:[0,0,1] neg_hi:[0,0,1]
	s_waitcnt lgkmcnt(1)
	v_pk_add_f32 v[106:107], v[96:97], v[106:107] neg_lo:[0,1] neg_hi:[0,1]
	v_pk_add_f32 v[216:217], v[98:99], v[210:211] neg_lo:[0,1] neg_hi:[0,1]
	v_pk_fma_f32 v[104:105], v[96:97], 2.0, v[106:107] op_sel_hi:[1,0,1] neg_lo:[0,0,1] neg_hi:[0,0,1]
	v_pk_fma_f32 v[214:215], v[98:99], 2.0, v[216:217] op_sel_hi:[1,0,1] neg_lo:[0,0,1] neg_hi:[0,0,1]
	ds_read2_b64 v[96:99], v79 offset0:80 offset1:136
	s_waitcnt lgkmcnt(0)
	; wave barrier
	s_waitcnt lgkmcnt(0)
	ds_write_b128 v72, v[88:91]
	v_accvgpr_read_b32 v72, a29
	ds_write_b128 v72, v[74:77]
	v_accvgpr_read_b32 v72, a30
	;; [unrolled: 2-line block ×3, first 2 shown]
	v_pk_add_f32 v[250:251], v[98:99], v[218:219] neg_lo:[0,1] neg_hi:[0,1]
	ds_write_b128 v72, v[206:209]
	v_accvgpr_read_b32 v72, a32
	v_pk_add_f32 v[212:213], v[96:97], v[212:213] neg_lo:[0,1] neg_hi:[0,1]
	v_pk_fma_f32 v[248:249], v[98:99], 2.0, v[250:251] op_sel_hi:[1,0,1] neg_lo:[0,0,1] neg_hi:[0,0,1]
	v_pk_add_f32 v[98:99], v[86:87], v[220:221] neg_lo:[0,1] neg_hi:[0,1]
	ds_write_b128 v72, v[104:107]
	v_accvgpr_read_b32 v72, a33
	v_pk_fma_f32 v[210:211], v[96:97], 2.0, v[212:213] op_sel_hi:[1,0,1] neg_lo:[0,0,1] neg_hi:[0,0,1]
	v_pk_fma_f32 v[96:97], v[86:87], 2.0, v[98:99] op_sel_hi:[1,0,1] neg_lo:[0,0,1] neg_hi:[0,0,1]
	ds_write_b128 v72, v[214:217]
	ds_write_b128 v238, v[210:213]
	;; [unrolled: 1-line block ×3, first 2 shown]
	v_accvgpr_read_b32 v72, a34
	ds_write_b128 v72, v[96:99]
	s_waitcnt lgkmcnt(0)
	; wave barrier
	s_waitcnt lgkmcnt(0)
	ds_read2_b64 v[72:75], v79 offset0:192 offset1:248
	ds_read2_b64 v[86:89], v83 offset0:128 offset1:184
	s_waitcnt lgkmcnt(0)
	v_pk_mul_f32 v[76:77], v[166:167], v[88:89]
	s_nop 0
	v_pk_fma_f32 v[80:81], v[204:205], v[88:89], v[76:77] op_sel:[0,0,1] op_sel_hi:[1,1,0]
	v_pk_fma_f32 v[76:77], v[204:205], v[88:89], v[76:77] op_sel:[0,0,1] op_sel_hi:[1,1,0] neg_lo:[0,0,1] neg_hi:[0,0,1]
	ds_read2_b64 v[88:91], v79 offset0:80 offset1:136
	v_mov_b32_e32 v81, v77
	v_pk_add_f32 v[76:77], v[72:73], v[80:81] neg_lo:[0,1] neg_hi:[0,1]
	v_pk_mul_f32 v[80:81], v[166:167], v[86:87]
	v_pk_fma_f32 v[72:73], v[72:73], 2.0, v[76:77] op_sel_hi:[1,0,1] neg_lo:[0,0,1] neg_hi:[0,0,1]
	v_pk_fma_f32 v[92:93], v[204:205], v[86:87], v[80:81] op_sel:[0,0,1] op_sel_hi:[1,1,0]
	v_pk_fma_f32 v[80:81], v[204:205], v[86:87], v[80:81] op_sel:[0,0,1] op_sel_hi:[1,1,0] neg_lo:[0,0,1] neg_hi:[0,0,1]
	s_nop 0
	v_mov_b32_e32 v93, v81
	s_waitcnt lgkmcnt(0)
	v_pk_add_f32 v[80:81], v[90:91], v[92:93] neg_lo:[0,1] neg_hi:[0,1]
	s_nop 0
	v_pk_fma_f32 v[94:95], v[90:91], 2.0, v[80:81] op_sel_hi:[1,0,1] neg_lo:[0,0,1] neg_hi:[0,0,1]
	ds_read2_b64 v[90:93], v83 offset0:16 offset1:72
	s_waitcnt lgkmcnt(0)
	v_pk_mul_f32 v[86:87], v[166:167], v[92:93]
	s_nop 0
	v_pk_fma_f32 v[96:97], v[204:205], v[92:93], v[86:87] op_sel:[0,0,1] op_sel_hi:[1,1,0]
	v_pk_fma_f32 v[86:87], v[204:205], v[92:93], v[86:87] op_sel:[0,0,1] op_sel_hi:[1,1,0] neg_lo:[0,0,1] neg_hi:[0,0,1]
	v_pk_mul_f32 v[92:93], v[166:167], v[90:91]
	v_mov_b32_e32 v97, v87
	v_pk_add_f32 v[96:97], v[88:89], v[96:97] neg_lo:[0,1] neg_hi:[0,1]
	v_pk_fma_f32 v[104:105], v[204:205], v[90:91], v[92:93] op_sel:[0,0,1] op_sel_hi:[1,1,0]
	v_pk_fma_f32 v[98:99], v[88:89], 2.0, v[96:97] op_sel_hi:[1,0,1] neg_lo:[0,0,1] neg_hi:[0,0,1]
	ds_read2_b64 v[86:89], v85 offset0:96 offset1:152
	v_pk_fma_f32 v[90:91], v[204:205], v[90:91], v[92:93] op_sel:[0,0,1] op_sel_hi:[1,1,0] neg_lo:[0,0,1] neg_hi:[0,0,1]
	s_nop 0
	v_mov_b32_e32 v105, v91
	s_waitcnt lgkmcnt(0)
	v_pk_add_f32 v[104:105], v[88:89], v[104:105] neg_lo:[0,1] neg_hi:[0,1]
	s_nop 0
	v_pk_fma_f32 v[106:107], v[88:89], 2.0, v[104:105] op_sel_hi:[1,0,1] neg_lo:[0,0,1] neg_hi:[0,0,1]
	ds_read2_b64 v[88:91], v82 offset0:160 offset1:216
	s_waitcnt lgkmcnt(0)
	v_pk_mul_f32 v[92:93], v[166:167], v[90:91]
	s_nop 0
	v_pk_fma_f32 v[206:207], v[204:205], v[90:91], v[92:93] op_sel:[0,0,1] op_sel_hi:[1,1,0]
	v_pk_fma_f32 v[90:91], v[204:205], v[90:91], v[92:93] op_sel:[0,0,1] op_sel_hi:[1,1,0] neg_lo:[0,0,1] neg_hi:[0,0,1]
	s_nop 0
	v_mov_b32_e32 v207, v91
	v_pk_add_f32 v[206:207], v[86:87], v[206:207] neg_lo:[0,1] neg_hi:[0,1]
	ds_read2_b64 v[90:93], v108 offset0:112 offset1:168
	v_pk_fma_f32 v[208:209], v[86:87], 2.0, v[206:207] op_sel_hi:[1,0,1] neg_lo:[0,0,1] neg_hi:[0,0,1]
	v_pk_mul_f32 v[86:87], v[166:167], v[88:89]
	s_nop 0
	v_pk_fma_f32 v[210:211], v[204:205], v[88:89], v[86:87] op_sel:[0,0,1] op_sel_hi:[1,1,0]
	v_pk_fma_f32 v[86:87], v[204:205], v[88:89], v[86:87] op_sel:[0,0,1] op_sel_hi:[1,1,0] neg_lo:[0,0,1] neg_hi:[0,0,1]
	s_nop 0
	v_mov_b32_e32 v211, v87
	ds_read2_b64 v[86:89], v82 offset0:48 offset1:104
	s_waitcnt lgkmcnt(1)
	v_pk_add_f32 v[210:211], v[92:93], v[210:211] neg_lo:[0,1] neg_hi:[0,1]
	s_waitcnt lgkmcnt(0)
	v_pk_mul_f32 v[212:213], v[166:167], v[88:89]
	s_nop 0
	v_pk_fma_f32 v[214:215], v[204:205], v[88:89], v[212:213] op_sel:[0,0,1] op_sel_hi:[1,1,0]
	v_pk_fma_f32 v[88:89], v[204:205], v[88:89], v[212:213] op_sel:[0,0,1] op_sel_hi:[1,1,0] neg_lo:[0,0,1] neg_hi:[0,0,1]
	v_pk_mul_f32 v[216:217], v[166:167], v[86:87]
	v_mov_b32_e32 v215, v89
	v_pk_add_f32 v[212:213], v[90:91], v[214:215] neg_lo:[0,1] neg_hi:[0,1]
	v_pk_mul_f32 v[166:167], v[166:167], v[74:75]
	v_pk_fma_f32 v[214:215], v[90:91], 2.0, v[212:213] op_sel_hi:[1,0,1] neg_lo:[0,0,1] neg_hi:[0,0,1]
	ds_read2_b64 v[88:91], v108 offset1:56
	v_pk_fma_f32 v[218:219], v[204:205], v[86:87], v[216:217] op_sel:[0,0,1] op_sel_hi:[1,1,0]
	v_pk_fma_f32 v[86:87], v[204:205], v[86:87], v[216:217] op_sel:[0,0,1] op_sel_hi:[1,1,0] neg_lo:[0,0,1] neg_hi:[0,0,1]
	v_pk_fma_f32 v[216:217], v[204:205], v[74:75], v[166:167] op_sel:[0,0,1] op_sel_hi:[1,1,0]
	v_pk_fma_f32 v[74:75], v[204:205], v[74:75], v[166:167] op_sel:[0,0,1] op_sel_hi:[1,1,0] neg_lo:[0,0,1] neg_hi:[0,0,1]
	v_mov_b32_e32 v219, v87
	v_mov_b32_e32 v217, v75
	s_waitcnt lgkmcnt(0)
	v_pk_add_f32 v[74:75], v[88:89], v[216:217] neg_lo:[0,1] neg_hi:[0,1]
	v_pk_add_f32 v[86:87], v[90:91], v[218:219] neg_lo:[0,1] neg_hi:[0,1]
	v_pk_fma_f32 v[88:89], v[88:89], 2.0, v[74:75] op_sel_hi:[1,0,1] neg_lo:[0,0,1] neg_hi:[0,0,1]
	v_pk_fma_f32 v[90:91], v[90:91], 2.0, v[86:87] op_sel_hi:[1,0,1] neg_lo:[0,0,1] neg_hi:[0,0,1]
	s_waitcnt lgkmcnt(0)
	; wave barrier
	ds_write2_b64 v78, v[88:89], v[74:75] offset1:2
	v_accvgpr_read_b32 v74, a20
	ds_write2_b64 v74, v[90:91], v[86:87] offset1:2
	v_accvgpr_read_b32 v74, a21
	v_pk_fma_f32 v[92:93], v[92:93], 2.0, v[210:211] op_sel_hi:[1,0,1] neg_lo:[0,0,1] neg_hi:[0,0,1]
	ds_write2_b64 v74, v[214:215], v[212:213] offset1:2
	v_accvgpr_read_b32 v74, a22
	ds_write2_b64 v74, v[92:93], v[210:211] offset1:2
	v_accvgpr_read_b32 v74, a23
	ds_write2_b64 v74, v[208:209], v[206:207] offset1:2
	v_accvgpr_read_b32 v74, a24
	ds_write2_b64 v74, v[106:107], v[104:105] offset1:2
	v_accvgpr_read_b32 v74, a25
	ds_write2_b64 v74, v[98:99], v[96:97] offset1:2
	v_accvgpr_read_b32 v74, a26
	ds_write2_b64 v74, v[94:95], v[80:81] offset1:2
	v_accvgpr_read_b32 v74, a27
	ds_write2_b64 v74, v[72:73], v[76:77] offset1:2
	s_waitcnt lgkmcnt(0)
	; wave barrier
	s_waitcnt lgkmcnt(0)
	ds_read2_b64 v[72:75], v79 offset0:192 offset1:248
	ds_read2_b64 v[86:89], v83 offset0:128 offset1:184
	v_accvgpr_read_b32 v78, a10
	s_waitcnt lgkmcnt(0)
	v_pk_mul_f32 v[76:77], v[164:165], v[88:89]
	s_nop 0
	v_pk_fma_f32 v[80:81], v[202:203], v[88:89], v[76:77] op_sel:[0,0,1] op_sel_hi:[1,1,0]
	v_pk_fma_f32 v[76:77], v[202:203], v[88:89], v[76:77] op_sel:[0,0,1] op_sel_hi:[1,1,0] neg_lo:[0,0,1] neg_hi:[0,0,1]
	ds_read2_b64 v[88:91], v79 offset0:80 offset1:136
	v_mov_b32_e32 v81, v77
	v_pk_add_f32 v[76:77], v[72:73], v[80:81] neg_lo:[0,1] neg_hi:[0,1]
	v_pk_mul_f32 v[80:81], v[164:165], v[86:87]
	v_pk_fma_f32 v[72:73], v[72:73], 2.0, v[76:77] op_sel_hi:[1,0,1] neg_lo:[0,0,1] neg_hi:[0,0,1]
	v_pk_fma_f32 v[92:93], v[202:203], v[86:87], v[80:81] op_sel:[0,0,1] op_sel_hi:[1,1,0]
	v_pk_fma_f32 v[80:81], v[202:203], v[86:87], v[80:81] op_sel:[0,0,1] op_sel_hi:[1,1,0] neg_lo:[0,0,1] neg_hi:[0,0,1]
	s_nop 0
	v_mov_b32_e32 v93, v81
	s_waitcnt lgkmcnt(0)
	v_pk_add_f32 v[80:81], v[90:91], v[92:93] neg_lo:[0,1] neg_hi:[0,1]
	s_nop 0
	v_pk_fma_f32 v[94:95], v[90:91], 2.0, v[80:81] op_sel_hi:[1,0,1] neg_lo:[0,0,1] neg_hi:[0,0,1]
	ds_read2_b64 v[90:93], v83 offset0:16 offset1:72
	s_waitcnt lgkmcnt(0)
	v_pk_mul_f32 v[86:87], v[164:165], v[92:93]
	s_nop 0
	v_pk_fma_f32 v[96:97], v[202:203], v[92:93], v[86:87] op_sel:[0,0,1] op_sel_hi:[1,1,0]
	v_pk_fma_f32 v[86:87], v[202:203], v[92:93], v[86:87] op_sel:[0,0,1] op_sel_hi:[1,1,0] neg_lo:[0,0,1] neg_hi:[0,0,1]
	v_pk_mul_f32 v[92:93], v[164:165], v[90:91]
	v_mov_b32_e32 v97, v87
	v_pk_add_f32 v[96:97], v[88:89], v[96:97] neg_lo:[0,1] neg_hi:[0,1]
	v_pk_fma_f32 v[104:105], v[202:203], v[90:91], v[92:93] op_sel:[0,0,1] op_sel_hi:[1,1,0]
	v_pk_fma_f32 v[98:99], v[88:89], 2.0, v[96:97] op_sel_hi:[1,0,1] neg_lo:[0,0,1] neg_hi:[0,0,1]
	ds_read2_b64 v[86:89], v85 offset0:96 offset1:152
	v_pk_fma_f32 v[90:91], v[202:203], v[90:91], v[92:93] op_sel:[0,0,1] op_sel_hi:[1,1,0] neg_lo:[0,0,1] neg_hi:[0,0,1]
	s_nop 0
	v_mov_b32_e32 v105, v91
	s_waitcnt lgkmcnt(0)
	v_pk_add_f32 v[104:105], v[88:89], v[104:105] neg_lo:[0,1] neg_hi:[0,1]
	s_nop 0
	v_pk_fma_f32 v[106:107], v[88:89], 2.0, v[104:105] op_sel_hi:[1,0,1] neg_lo:[0,0,1] neg_hi:[0,0,1]
	ds_read2_b64 v[88:91], v82 offset0:160 offset1:216
	s_waitcnt lgkmcnt(0)
	v_pk_mul_f32 v[92:93], v[164:165], v[90:91]
	s_nop 0
	v_pk_fma_f32 v[166:167], v[202:203], v[90:91], v[92:93] op_sel:[0,0,1] op_sel_hi:[1,1,0]
	v_pk_fma_f32 v[90:91], v[202:203], v[90:91], v[92:93] op_sel:[0,0,1] op_sel_hi:[1,1,0] neg_lo:[0,0,1] neg_hi:[0,0,1]
	s_nop 0
	v_mov_b32_e32 v167, v91
	v_pk_add_f32 v[166:167], v[86:87], v[166:167] neg_lo:[0,1] neg_hi:[0,1]
	ds_read2_b64 v[90:93], v108 offset0:112 offset1:168
	v_pk_fma_f32 v[204:205], v[86:87], 2.0, v[166:167] op_sel_hi:[1,0,1] neg_lo:[0,0,1] neg_hi:[0,0,1]
	v_pk_mul_f32 v[86:87], v[164:165], v[88:89]
	s_nop 0
	v_pk_fma_f32 v[206:207], v[202:203], v[88:89], v[86:87] op_sel:[0,0,1] op_sel_hi:[1,1,0]
	v_pk_fma_f32 v[86:87], v[202:203], v[88:89], v[86:87] op_sel:[0,0,1] op_sel_hi:[1,1,0] neg_lo:[0,0,1] neg_hi:[0,0,1]
	s_nop 0
	v_mov_b32_e32 v207, v87
	ds_read2_b64 v[86:89], v82 offset0:48 offset1:104
	s_waitcnt lgkmcnt(1)
	v_pk_add_f32 v[206:207], v[92:93], v[206:207] neg_lo:[0,1] neg_hi:[0,1]
	s_waitcnt lgkmcnt(0)
	v_pk_mul_f32 v[208:209], v[164:165], v[88:89]
	s_nop 0
	v_pk_fma_f32 v[210:211], v[202:203], v[88:89], v[208:209] op_sel:[0,0,1] op_sel_hi:[1,1,0]
	v_pk_fma_f32 v[88:89], v[202:203], v[88:89], v[208:209] op_sel:[0,0,1] op_sel_hi:[1,1,0] neg_lo:[0,0,1] neg_hi:[0,0,1]
	v_pk_mul_f32 v[212:213], v[164:165], v[86:87]
	v_mov_b32_e32 v211, v89
	v_pk_add_f32 v[208:209], v[90:91], v[210:211] neg_lo:[0,1] neg_hi:[0,1]
	v_pk_mul_f32 v[164:165], v[164:165], v[74:75]
	v_pk_fma_f32 v[210:211], v[90:91], 2.0, v[208:209] op_sel_hi:[1,0,1] neg_lo:[0,0,1] neg_hi:[0,0,1]
	ds_read2_b64 v[88:91], v108 offset1:56
	v_pk_fma_f32 v[214:215], v[202:203], v[86:87], v[212:213] op_sel:[0,0,1] op_sel_hi:[1,1,0]
	v_pk_fma_f32 v[86:87], v[202:203], v[86:87], v[212:213] op_sel:[0,0,1] op_sel_hi:[1,1,0] neg_lo:[0,0,1] neg_hi:[0,0,1]
	v_pk_fma_f32 v[212:213], v[202:203], v[74:75], v[164:165] op_sel:[0,0,1] op_sel_hi:[1,1,0]
	v_pk_fma_f32 v[74:75], v[202:203], v[74:75], v[164:165] op_sel:[0,0,1] op_sel_hi:[1,1,0] neg_lo:[0,0,1] neg_hi:[0,0,1]
	v_mov_b32_e32 v215, v87
	v_mov_b32_e32 v213, v75
	s_waitcnt lgkmcnt(0)
	v_pk_add_f32 v[74:75], v[88:89], v[212:213] neg_lo:[0,1] neg_hi:[0,1]
	v_pk_add_f32 v[86:87], v[90:91], v[214:215] neg_lo:[0,1] neg_hi:[0,1]
	v_pk_fma_f32 v[88:89], v[88:89], 2.0, v[74:75] op_sel_hi:[1,0,1] neg_lo:[0,0,1] neg_hi:[0,0,1]
	v_pk_fma_f32 v[90:91], v[90:91], 2.0, v[86:87] op_sel_hi:[1,0,1] neg_lo:[0,0,1] neg_hi:[0,0,1]
	s_waitcnt lgkmcnt(0)
	; wave barrier
	ds_write2_b64 v78, v[88:89], v[74:75] offset1:4
	v_accvgpr_read_b32 v74, a11
	ds_write2_b64 v74, v[90:91], v[86:87] offset1:4
	v_accvgpr_read_b32 v74, a12
	v_pk_fma_f32 v[92:93], v[92:93], 2.0, v[206:207] op_sel_hi:[1,0,1] neg_lo:[0,0,1] neg_hi:[0,0,1]
	ds_write2_b64 v74, v[210:211], v[208:209] offset1:4
	v_accvgpr_read_b32 v74, a13
	ds_write2_b64 v74, v[92:93], v[206:207] offset1:4
	v_accvgpr_read_b32 v74, a14
	;; [unrolled: 2-line block ×6, first 2 shown]
	ds_write2_b64 v74, v[72:73], v[76:77] offset1:4
	s_waitcnt lgkmcnt(0)
	; wave barrier
	s_waitcnt lgkmcnt(0)
	ds_read2_b64 v[72:75], v79 offset0:192 offset1:248
	ds_read2_b64 v[86:89], v83 offset0:128 offset1:184
	v_accvgpr_read_b32 v78, a1
	s_waitcnt lgkmcnt(0)
	v_pk_mul_f32 v[76:77], v[150:151], v[88:89]
	s_nop 0
	v_pk_fma_f32 v[80:81], v[200:201], v[88:89], v[76:77] op_sel:[0,0,1] op_sel_hi:[1,1,0]
	v_pk_fma_f32 v[76:77], v[200:201], v[88:89], v[76:77] op_sel:[0,0,1] op_sel_hi:[1,1,0] neg_lo:[0,0,1] neg_hi:[0,0,1]
	ds_read2_b64 v[88:91], v79 offset0:80 offset1:136
	v_mov_b32_e32 v81, v77
	v_pk_add_f32 v[76:77], v[72:73], v[80:81] neg_lo:[0,1] neg_hi:[0,1]
	v_pk_mul_f32 v[80:81], v[150:151], v[86:87]
	v_pk_fma_f32 v[72:73], v[72:73], 2.0, v[76:77] op_sel_hi:[1,0,1] neg_lo:[0,0,1] neg_hi:[0,0,1]
	v_pk_fma_f32 v[92:93], v[200:201], v[86:87], v[80:81] op_sel:[0,0,1] op_sel_hi:[1,1,0]
	v_pk_fma_f32 v[80:81], v[200:201], v[86:87], v[80:81] op_sel:[0,0,1] op_sel_hi:[1,1,0] neg_lo:[0,0,1] neg_hi:[0,0,1]
	s_nop 0
	v_mov_b32_e32 v93, v81
	s_waitcnt lgkmcnt(0)
	v_pk_add_f32 v[80:81], v[90:91], v[92:93] neg_lo:[0,1] neg_hi:[0,1]
	s_nop 0
	v_pk_fma_f32 v[94:95], v[90:91], 2.0, v[80:81] op_sel_hi:[1,0,1] neg_lo:[0,0,1] neg_hi:[0,0,1]
	ds_read2_b64 v[90:93], v83 offset0:16 offset1:72
	s_waitcnt lgkmcnt(0)
	v_pk_mul_f32 v[86:87], v[150:151], v[92:93]
	s_nop 0
	v_pk_fma_f32 v[96:97], v[200:201], v[92:93], v[86:87] op_sel:[0,0,1] op_sel_hi:[1,1,0]
	v_pk_fma_f32 v[86:87], v[200:201], v[92:93], v[86:87] op_sel:[0,0,1] op_sel_hi:[1,1,0] neg_lo:[0,0,1] neg_hi:[0,0,1]
	v_pk_mul_f32 v[92:93], v[150:151], v[90:91]
	v_mov_b32_e32 v97, v87
	v_pk_add_f32 v[96:97], v[88:89], v[96:97] neg_lo:[0,1] neg_hi:[0,1]
	v_pk_fma_f32 v[104:105], v[200:201], v[90:91], v[92:93] op_sel:[0,0,1] op_sel_hi:[1,1,0]
	v_pk_fma_f32 v[98:99], v[88:89], 2.0, v[96:97] op_sel_hi:[1,0,1] neg_lo:[0,0,1] neg_hi:[0,0,1]
	ds_read2_b64 v[86:89], v85 offset0:96 offset1:152
	v_pk_fma_f32 v[90:91], v[200:201], v[90:91], v[92:93] op_sel:[0,0,1] op_sel_hi:[1,1,0] neg_lo:[0,0,1] neg_hi:[0,0,1]
	s_nop 0
	v_mov_b32_e32 v105, v91
	s_waitcnt lgkmcnt(0)
	v_pk_add_f32 v[104:105], v[88:89], v[104:105] neg_lo:[0,1] neg_hi:[0,1]
	s_nop 0
	v_pk_fma_f32 v[106:107], v[88:89], 2.0, v[104:105] op_sel_hi:[1,0,1] neg_lo:[0,0,1] neg_hi:[0,0,1]
	ds_read2_b64 v[88:91], v82 offset0:160 offset1:216
	s_waitcnt lgkmcnt(0)
	v_pk_mul_f32 v[92:93], v[150:151], v[90:91]
	s_nop 0
	v_pk_fma_f32 v[164:165], v[200:201], v[90:91], v[92:93] op_sel:[0,0,1] op_sel_hi:[1,1,0]
	v_pk_fma_f32 v[90:91], v[200:201], v[90:91], v[92:93] op_sel:[0,0,1] op_sel_hi:[1,1,0] neg_lo:[0,0,1] neg_hi:[0,0,1]
	s_nop 0
	v_mov_b32_e32 v165, v91
	v_pk_add_f32 v[164:165], v[86:87], v[164:165] neg_lo:[0,1] neg_hi:[0,1]
	ds_read2_b64 v[90:93], v108 offset0:112 offset1:168
	v_pk_fma_f32 v[166:167], v[86:87], 2.0, v[164:165] op_sel_hi:[1,0,1] neg_lo:[0,0,1] neg_hi:[0,0,1]
	v_pk_mul_f32 v[86:87], v[150:151], v[88:89]
	s_nop 0
	v_pk_fma_f32 v[202:203], v[200:201], v[88:89], v[86:87] op_sel:[0,0,1] op_sel_hi:[1,1,0]
	v_pk_fma_f32 v[86:87], v[200:201], v[88:89], v[86:87] op_sel:[0,0,1] op_sel_hi:[1,1,0] neg_lo:[0,0,1] neg_hi:[0,0,1]
	s_nop 0
	v_mov_b32_e32 v203, v87
	ds_read2_b64 v[86:89], v82 offset0:48 offset1:104
	s_waitcnt lgkmcnt(1)
	v_pk_add_f32 v[202:203], v[92:93], v[202:203] neg_lo:[0,1] neg_hi:[0,1]
	s_waitcnt lgkmcnt(0)
	v_pk_mul_f32 v[204:205], v[150:151], v[88:89]
	s_nop 0
	v_pk_fma_f32 v[206:207], v[200:201], v[88:89], v[204:205] op_sel:[0,0,1] op_sel_hi:[1,1,0]
	v_pk_fma_f32 v[88:89], v[200:201], v[88:89], v[204:205] op_sel:[0,0,1] op_sel_hi:[1,1,0] neg_lo:[0,0,1] neg_hi:[0,0,1]
	v_pk_mul_f32 v[208:209], v[150:151], v[86:87]
	v_mov_b32_e32 v207, v89
	v_pk_add_f32 v[204:205], v[90:91], v[206:207] neg_lo:[0,1] neg_hi:[0,1]
	v_pk_mul_f32 v[150:151], v[150:151], v[74:75]
	v_pk_fma_f32 v[206:207], v[90:91], 2.0, v[204:205] op_sel_hi:[1,0,1] neg_lo:[0,0,1] neg_hi:[0,0,1]
	ds_read2_b64 v[88:91], v108 offset1:56
	v_pk_fma_f32 v[210:211], v[200:201], v[86:87], v[208:209] op_sel:[0,0,1] op_sel_hi:[1,1,0]
	v_pk_fma_f32 v[86:87], v[200:201], v[86:87], v[208:209] op_sel:[0,0,1] op_sel_hi:[1,1,0] neg_lo:[0,0,1] neg_hi:[0,0,1]
	v_pk_fma_f32 v[208:209], v[200:201], v[74:75], v[150:151] op_sel:[0,0,1] op_sel_hi:[1,1,0]
	v_pk_fma_f32 v[74:75], v[200:201], v[74:75], v[150:151] op_sel:[0,0,1] op_sel_hi:[1,1,0] neg_lo:[0,0,1] neg_hi:[0,0,1]
	v_mov_b32_e32 v211, v87
	v_mov_b32_e32 v209, v75
	s_waitcnt lgkmcnt(0)
	v_pk_add_f32 v[74:75], v[88:89], v[208:209] neg_lo:[0,1] neg_hi:[0,1]
	v_pk_add_f32 v[86:87], v[90:91], v[210:211] neg_lo:[0,1] neg_hi:[0,1]
	v_pk_fma_f32 v[88:89], v[88:89], 2.0, v[74:75] op_sel_hi:[1,0,1] neg_lo:[0,0,1] neg_hi:[0,0,1]
	v_pk_fma_f32 v[90:91], v[90:91], 2.0, v[86:87] op_sel_hi:[1,0,1] neg_lo:[0,0,1] neg_hi:[0,0,1]
	s_waitcnt lgkmcnt(0)
	; wave barrier
	ds_write2_b64 v78, v[88:89], v[74:75] offset1:8
	v_accvgpr_read_b32 v74, a2
	ds_write2_b64 v74, v[90:91], v[86:87] offset1:8
	v_accvgpr_read_b32 v74, a3
	v_pk_fma_f32 v[92:93], v[92:93], 2.0, v[202:203] op_sel_hi:[1,0,1] neg_lo:[0,0,1] neg_hi:[0,0,1]
	ds_write2_b64 v74, v[206:207], v[204:205] offset1:8
	v_accvgpr_read_b32 v74, a4
	ds_write2_b64 v74, v[92:93], v[202:203] offset1:8
	v_accvgpr_read_b32 v74, a5
	;; [unrolled: 2-line block ×6, first 2 shown]
	ds_write2_b64 v74, v[72:73], v[76:77] offset1:8
	s_waitcnt lgkmcnt(0)
	; wave barrier
	s_waitcnt lgkmcnt(0)
	ds_read2_b64 v[72:75], v85 offset0:96 offset1:152
	ds_read2_b64 v[86:89], v82 offset0:48 offset1:104
	;; [unrolled: 1-line block ×3, first 2 shown]
	s_waitcnt lgkmcnt(1)
	v_pk_mul_f32 v[76:77], v[198:199], v[88:89]
	s_nop 0
	v_pk_fma_f32 v[80:81], v[196:197], v[88:89], v[76:77] op_sel:[0,0,1] op_sel_hi:[1,1,0]
	v_pk_fma_f32 v[76:77], v[196:197], v[88:89], v[76:77] op_sel:[0,0,1] op_sel_hi:[1,1,0] neg_lo:[0,0,1] neg_hi:[0,0,1]
	v_pk_mul_f32 v[88:89], v[0:1], v[86:87]
	v_mov_b32_e32 v81, v77
	v_pk_fma_f32 v[104:105], v[156:157], v[86:87], v[88:89] op_sel:[0,0,1] op_sel_hi:[1,1,0]
	v_pk_fma_f32 v[86:87], v[156:157], v[86:87], v[88:89] op_sel:[0,0,1] op_sel_hi:[1,1,0] neg_lo:[0,0,1] neg_hi:[0,0,1]
	s_waitcnt lgkmcnt(0)
	v_pk_mul_f32 v[76:77], v[180:181], v[92:93]
	v_mov_b32_e32 v105, v87
	v_pk_mul_f32 v[86:87], v[154:155], v[90:91]
	v_pk_fma_f32 v[98:99], v[194:195], v[92:93], v[76:77] op_sel:[0,0,1] op_sel_hi:[1,1,0]
	v_pk_fma_f32 v[106:107], v[2:3], v[90:91], v[86:87] op_sel:[0,0,1] op_sel_hi:[1,1,0]
	v_pk_fma_f32 v[86:87], v[2:3], v[90:91], v[86:87] op_sel:[0,0,1] op_sel_hi:[1,1,0] neg_lo:[0,0,1] neg_hi:[0,0,1]
	v_pk_fma_f32 v[76:77], v[194:195], v[92:93], v[76:77] op_sel:[0,0,1] op_sel_hi:[1,1,0] neg_lo:[0,0,1] neg_hi:[0,0,1]
	v_mov_b32_e32 v107, v87
	v_pk_add_f32 v[86:87], v[72:73], v[104:105]
	v_mov_b32_e32 v99, v77
	v_pk_add_f32 v[150:151], v[86:87], v[106:107]
	ds_read2_b64 v[86:89], v108 offset0:112 offset1:168
	ds_read2_b64 v[90:93], v79 offset0:192 offset1:248
	;; [unrolled: 1-line block ×3, first 2 shown]
	v_pk_add_f32 v[76:77], v[74:75], v[80:81]
	s_waitcnt lgkmcnt(1)
	v_pk_mul_f32 v[164:165], v[170:171], v[92:93]
	s_nop 0
	v_pk_fma_f32 v[166:167], v[24:25], v[92:93], v[164:165] op_sel:[0,0,1] op_sel_hi:[1,1,0]
	v_pk_fma_f32 v[24:25], v[24:25], v[92:93], v[164:165] op_sel:[0,0,1] op_sel_hi:[1,1,0] neg_lo:[0,0,1] neg_hi:[0,0,1]
	v_pk_add_f32 v[76:77], v[76:77], v[98:99]
	v_mov_b32_e32 v167, v25
	s_waitcnt lgkmcnt(0)
	v_pk_mul_f32 v[24:25], v[168:169], v[96:97]
	s_nop 0
	v_pk_fma_f32 v[164:165], v[26:27], v[96:97], v[24:25] op_sel:[0,0,1] op_sel_hi:[1,1,0]
	v_pk_fma_f32 v[24:25], v[26:27], v[96:97], v[24:25] op_sel:[0,0,1] op_sel_hi:[1,1,0] neg_lo:[0,0,1] neg_hi:[0,0,1]
	s_nop 0
	v_mov_b32_e32 v165, v25
	v_pk_add_f32 v[24:25], v[88:89], v[166:167]
	s_nop 0
	v_pk_add_f32 v[168:169], v[24:25], v[164:165]
	v_pk_mul_f32 v[24:25], v[0:1], v[90:91]
	s_nop 0
	v_pk_fma_f32 v[170:171], v[156:157], v[90:91], v[24:25] op_sel:[0,0,1] op_sel_hi:[1,1,0]
	v_pk_fma_f32 v[24:25], v[156:157], v[90:91], v[24:25] op_sel:[0,0,1] op_sel_hi:[1,1,0] neg_lo:[0,0,1] neg_hi:[0,0,1]
	s_nop 0
	v_mov_b32_e32 v171, v25
	v_pk_mul_f32 v[24:25], v[154:155], v[94:95]
	s_nop 0
	v_pk_fma_f32 v[180:181], v[2:3], v[94:95], v[24:25] op_sel:[0,0,1] op_sel_hi:[1,1,0]
	v_pk_fma_f32 v[24:25], v[2:3], v[94:95], v[24:25] op_sel:[0,0,1] op_sel_hi:[1,1,0] neg_lo:[0,0,1] neg_hi:[0,0,1]
	s_nop 0
	v_mov_b32_e32 v181, v25
	v_pk_add_f32 v[24:25], v[86:87], v[170:171]
	s_nop 0
	v_pk_add_f32 v[194:195], v[24:25], v[180:181]
	ds_read2_b64 v[24:27], v108 offset1:56
	ds_read2_b64 v[90:93], v79 offset0:80 offset1:136
	ds_read2_b64 v[94:97], v82 offset0:160 offset1:216
	s_waitcnt lgkmcnt(0)
	; wave barrier
	s_waitcnt lgkmcnt(0)
	v_pk_mul_f32 v[158:159], v[158:159], v[92:93]
	s_nop 0
	v_pk_fma_f32 v[196:197], v[162:163], v[92:93], v[158:159] op_sel:[0,0,1] op_sel_hi:[1,1,0]
	v_pk_fma_f32 v[92:93], v[162:163], v[92:93], v[158:159] op_sel:[0,0,1] op_sel_hi:[1,1,0] neg_lo:[0,0,1] neg_hi:[0,0,1]
	v_pk_mul_f32 v[0:1], v[0:1], v[90:91]
	v_mov_b32_e32 v197, v93
	v_pk_mul_f32 v[92:93], v[160:161], v[96:97]
	s_nop 0
	v_pk_fma_f32 v[158:159], v[152:153], v[96:97], v[92:93] op_sel:[0,0,1] op_sel_hi:[1,1,0]
	v_pk_fma_f32 v[92:93], v[152:153], v[96:97], v[92:93] op_sel:[0,0,1] op_sel_hi:[1,1,0] neg_lo:[0,0,1] neg_hi:[0,0,1]
	v_pk_fma_f32 v[96:97], v[156:157], v[90:91], v[0:1] op_sel:[0,0,1] op_sel_hi:[1,1,0]
	v_pk_fma_f32 v[0:1], v[156:157], v[90:91], v[0:1] op_sel:[0,0,1] op_sel_hi:[1,1,0] neg_lo:[0,0,1] neg_hi:[0,0,1]
	v_mov_b32_e32 v159, v93
	v_mov_b32_e32 v97, v1
	v_pk_mul_f32 v[0:1], v[154:155], v[94:95]
	v_pk_add_f32 v[92:93], v[26:27], v[196:197]
	v_pk_fma_f32 v[90:91], v[2:3], v[94:95], v[0:1] op_sel:[0,0,1] op_sel_hi:[1,1,0]
	v_pk_fma_f32 v[0:1], v[2:3], v[94:95], v[0:1] op_sel:[0,0,1] op_sel_hi:[1,1,0] neg_lo:[0,0,1] neg_hi:[0,0,1]
	v_pk_add_f32 v[92:93], v[92:93], v[158:159]
	v_mov_b32_e32 v91, v1
	v_pk_add_f32 v[2:3], v[96:97], v[90:91]
	v_pk_add_f32 v[0:1], v[24:25], v[96:97]
	v_pk_fma_f32 v[2:3], v[2:3], 0.5, v[24:25] op_sel_hi:[1,0,1] neg_lo:[1,0,0] neg_hi:[1,0,0]
	v_pk_add_f32 v[24:25], v[96:97], v[90:91] neg_lo:[0,1] neg_hi:[0,1]
	v_pk_add_f32 v[0:1], v[0:1], v[90:91]
	v_pk_mul_f32 v[24:25], v[24:25], s[2:3] op_sel_hi:[1,0]
	s_nop 0
	v_pk_add_f32 v[90:91], v[2:3], v[24:25] op_sel:[0,1] op_sel_hi:[1,0] neg_lo:[0,1] neg_hi:[0,1]
	v_pk_add_f32 v[2:3], v[2:3], v[24:25] op_sel:[0,1] op_sel_hi:[1,0]
	v_mov_b32_e32 v24, v90
	v_mov_b32_e32 v25, v3
	v_mov_b32_e32 v3, v91
	ds_write2_b64 v237, v[0:1], v[24:25] offset1:16
	ds_write_b64 v237, v[2:3] offset:256
	v_pk_add_f32 v[0:1], v[196:197], v[158:159]
	v_pk_add_f32 v[2:3], v[196:197], v[158:159] neg_lo:[0,1] neg_hi:[0,1]
	v_pk_fma_f32 v[0:1], v[0:1], 0.5, v[26:27] op_sel_hi:[1,0,1] neg_lo:[1,0,0] neg_hi:[1,0,0]
	v_pk_mul_f32 v[2:3], v[2:3], s[2:3] op_sel_hi:[1,0]
	s_nop 0
	v_pk_add_f32 v[24:25], v[0:1], v[2:3] op_sel:[0,1] op_sel_hi:[1,0] neg_lo:[0,1] neg_hi:[0,1]
	v_pk_add_f32 v[0:1], v[0:1], v[2:3] op_sel:[0,1] op_sel_hi:[1,0]
	v_mov_b32_e32 v2, v24
	v_mov_b32_e32 v3, v1
	v_mov_b32_e32 v1, v25
	ds_write2_b64 v233, v[92:93], v[2:3] offset1:16
	ds_write_b64 v233, v[0:1] offset:256
	v_pk_add_f32 v[0:1], v[170:171], v[180:181]
	v_pk_add_f32 v[2:3], v[170:171], v[180:181] neg_lo:[0,1] neg_hi:[0,1]
	v_pk_fma_f32 v[0:1], v[0:1], 0.5, v[86:87] op_sel_hi:[1,0,1] neg_lo:[1,0,0] neg_hi:[1,0,0]
	;; [unrolled: 12-line block ×5, first 2 shown]
	v_pk_mul_f32 v[2:3], v[2:3], s[2:3] op_sel_hi:[1,0]
	s_nop 0
	v_pk_add_f32 v[24:25], v[0:1], v[2:3] op_sel:[0,1] op_sel_hi:[1,0] neg_lo:[0,1] neg_hi:[0,1]
	v_pk_add_f32 v[0:1], v[0:1], v[2:3] op_sel:[0,1] op_sel_hi:[1,0]
	v_mov_b32_e32 v2, v24
	v_mov_b32_e32 v3, v1
	;; [unrolled: 1-line block ×3, first 2 shown]
	ds_write2_b64 v229, v[76:77], v[2:3] offset1:16
	ds_write_b64 v229, v[0:1] offset:256
	s_waitcnt lgkmcnt(0)
	; wave barrier
	s_waitcnt lgkmcnt(0)
	ds_read2_b64 v[0:3], v82 offset0:48 offset1:104
	ds_read2_b64 v[24:27], v83 offset0:128 offset1:184
	ds_read2_b64 v[72:75], v85 offset0:96 offset1:152
	s_waitcnt lgkmcnt(2)
	v_pk_mul_f32 v[48:49], v[48:49], v[0:1]
	s_nop 0
	v_pk_fma_f32 v[80:81], v[192:193], v[0:1], v[48:49] op_sel:[0,0,1] op_sel_hi:[1,1,0]
	v_pk_fma_f32 v[0:1], v[192:193], v[0:1], v[48:49] op_sel:[0,0,1] op_sel_hi:[1,1,0] neg_lo:[0,0,1] neg_hi:[0,0,1]
	s_nop 0
	v_mov_b32_e32 v81, v1
	s_waitcnt lgkmcnt(1)
	v_pk_mul_f32 v[0:1], v[190:191], v[24:25]
	s_nop 0
	v_pk_fma_f32 v[90:91], v[50:51], v[24:25], v[0:1] op_sel:[0,0,1] op_sel_hi:[1,1,0]
	v_pk_fma_f32 v[0:1], v[50:51], v[24:25], v[0:1] op_sel:[0,0,1] op_sel_hi:[1,1,0] neg_lo:[0,0,1] neg_hi:[0,0,1]
	s_nop 0
	v_mov_b32_e32 v91, v1
	v_pk_add_f32 v[0:1], v[80:81], v[90:91]
	v_pk_add_f32 v[24:25], v[80:81], v[90:91] neg_lo:[0,1] neg_hi:[0,1]
	s_waitcnt lgkmcnt(0)
	v_pk_fma_f32 v[0:1], v[0:1], 0.5, v[72:73] op_sel_hi:[1,0,1] neg_lo:[1,0,0] neg_hi:[1,0,0]
	v_pk_mul_f32 v[24:25], v[24:25], s[2:3] op_sel_hi:[1,0]
	s_nop 0
	v_pk_add_f32 v[92:93], v[0:1], v[24:25] op_sel:[0,1] op_sel_hi:[1,0]
	v_pk_add_f32 v[94:95], v[0:1], v[24:25] op_sel:[0,1] op_sel_hi:[1,0] neg_lo:[0,1] neg_hi:[0,1]
	v_pk_mul_f32 v[24:25], v[44:45], v[2:3] op_sel:[0,1]
	v_mov_b32_e32 v1, v95
	v_pk_fma_f32 v[48:49], v[44:45], v[2:3], v[24:25] op_sel:[0,0,1] op_sel_hi:[1,0,0] neg_lo:[1,0,0] neg_hi:[1,0,0]
	v_pk_fma_f32 v[2:3], v[44:45], v[2:3], v[24:25] op_sel:[0,0,1] op_sel_hi:[1,0,0]
	v_pk_mul_f32 v[24:25], v[46:47], v[26:27] op_sel:[0,1]
	v_mov_b32_e32 v3, v49
	v_pk_fma_f32 v[44:45], v[46:47], v[26:27], v[24:25] op_sel:[0,0,1] op_sel_hi:[1,0,0] neg_lo:[1,0,0] neg_hi:[1,0,0]
	v_pk_fma_f32 v[26:27], v[46:47], v[26:27], v[24:25] op_sel:[0,0,1] op_sel_hi:[1,0,0]
	v_mov_b32_e32 v95, v93
	v_mov_b32_e32 v27, v45
	v_pk_add_f32 v[44:45], v[74:75], v[2:3]
	v_pk_add_f32 v[24:25], v[2:3], v[26:27]
	v_pk_add_f32 v[2:3], v[2:3], v[26:27] neg_lo:[0,1] neg_hi:[0,1]
	v_pk_fma_f32 v[46:47], v[24:25], 0.5, v[74:75] op_sel_hi:[1,0,1] neg_lo:[1,0,0] neg_hi:[1,0,0]
	v_pk_mul_f32 v[48:49], v[2:3], s[2:3] op_sel_hi:[1,0]
	v_pk_add_f32 v[2:3], v[44:45], v[26:27]
	v_mov_b32_e32 v50, v48
	v_mov_b32_e32 v51, v44
	;; [unrolled: 1-line block ×4, first 2 shown]
	v_pk_add_f32 v[24:25], v[46:47], v[48:49] op_sel:[0,1] op_sel_hi:[1,0] neg_lo:[0,1] neg_hi:[0,1]
	v_pk_add_f32 v[76:77], v[50:51], v[44:45]
	v_pk_add_f32 v[26:27], v[46:47], v[48:49] op_sel:[0,1] op_sel_hi:[1,0]
	ds_read2_b64 v[44:47], v108 offset0:112 offset1:168
	ds_read2_b64 v[48:51], v79 offset0:192 offset1:248
	;; [unrolled: 1-line block ×3, first 2 shown]
	v_mov_b32_e32 v27, v25
	v_mov_b32_e32 v2, v77
	;; [unrolled: 1-line block ×3, first 2 shown]
	s_waitcnt lgkmcnt(1)
	v_pk_mul_f32 v[32:33], v[32:33], v[50:51]
	v_pk_mul_f32 v[28:29], v[28:29], v[48:49]
	v_pk_fma_f32 v[74:75], v[188:189], v[50:51], v[32:33] op_sel:[0,0,1] op_sel_hi:[1,1,0]
	v_pk_fma_f32 v[32:33], v[188:189], v[50:51], v[32:33] op_sel:[0,0,1] op_sel_hi:[1,1,0] neg_lo:[0,0,1] neg_hi:[0,0,1]
	v_pk_fma_f32 v[98:99], v[184:185], v[48:49], v[28:29] op_sel:[0,0,1] op_sel_hi:[1,1,0]
	v_pk_fma_f32 v[28:29], v[184:185], v[48:49], v[28:29] op_sel:[0,0,1] op_sel_hi:[1,1,0] neg_lo:[0,0,1] neg_hi:[0,0,1]
	v_mov_b32_e32 v75, v33
	s_waitcnt lgkmcnt(0)
	v_pk_mul_f32 v[32:33], v[186:187], v[88:89]
	v_mov_b32_e32 v99, v29
	v_pk_mul_f32 v[28:29], v[182:183], v[86:87]
	v_pk_fma_f32 v[96:97], v[34:35], v[88:89], v[32:33] op_sel:[0,0,1] op_sel_hi:[1,1,0]
	v_pk_fma_f32 v[32:33], v[34:35], v[88:89], v[32:33] op_sel:[0,0,1] op_sel_hi:[1,1,0] neg_lo:[0,0,1] neg_hi:[0,0,1]
	v_pk_fma_f32 v[104:105], v[30:31], v[86:87], v[28:29] op_sel:[0,0,1] op_sel_hi:[1,1,0]
	v_pk_fma_f32 v[28:29], v[30:31], v[86:87], v[28:29] op_sel:[0,0,1] op_sel_hi:[1,1,0] neg_lo:[0,0,1] neg_hi:[0,0,1]
	v_mov_b32_e32 v97, v33
	v_pk_add_f32 v[32:33], v[46:47], v[74:75]
	v_mov_b32_e32 v105, v29
	v_pk_add_f32 v[28:29], v[44:45], v[98:99]
	v_pk_add_f32 v[88:89], v[32:33], v[96:97]
	;; [unrolled: 1-line block ×3, first 2 shown]
	ds_read2_b64 v[28:31], v108 offset1:56
	ds_read2_b64 v[32:35], v79 offset0:80 offset1:136
	ds_read2_b64 v[48:51], v82 offset0:160 offset1:216
	s_waitcnt lgkmcnt(0)
	; wave barrier
	s_waitcnt lgkmcnt(0)
	v_mov_b32_e32 v0, v92
	v_pk_mul_f32 v[20:21], v[20:21], v[34:35]
	v_pk_mul_f32 v[16:17], v[16:17], v[32:33]
	v_pk_fma_f32 v[106:107], v[178:179], v[34:35], v[20:21] op_sel:[0,0,1] op_sel_hi:[1,1,0]
	v_pk_fma_f32 v[20:21], v[178:179], v[34:35], v[20:21] op_sel:[0,0,1] op_sel_hi:[1,1,0] neg_lo:[0,0,1] neg_hi:[0,0,1]
	s_nop 0
	v_mov_b32_e32 v107, v21
	v_pk_mul_f32 v[20:21], v[176:177], v[50:51]
	s_nop 0
	v_pk_fma_f32 v[34:35], v[22:23], v[50:51], v[20:21] op_sel:[0,0,1] op_sel_hi:[1,1,0]
	v_pk_fma_f32 v[20:21], v[22:23], v[50:51], v[20:21] op_sel:[0,0,1] op_sel_hi:[1,1,0] neg_lo:[0,0,1] neg_hi:[0,0,1]
	v_pk_fma_f32 v[22:23], v[174:175], v[32:33], v[16:17] op_sel:[0,0,1] op_sel_hi:[1,1,0]
	v_pk_fma_f32 v[16:17], v[174:175], v[32:33], v[16:17] op_sel:[0,0,1] op_sel_hi:[1,1,0] neg_lo:[0,0,1] neg_hi:[0,0,1]
	v_mov_b32_e32 v35, v21
	v_mov_b32_e32 v23, v17
	v_pk_mul_f32 v[16:17], v[172:173], v[48:49]
	v_pk_add_f32 v[20:21], v[30:31], v[106:107]
	v_pk_fma_f32 v[32:33], v[18:19], v[48:49], v[16:17] op_sel:[0,0,1] op_sel_hi:[1,1,0]
	v_pk_fma_f32 v[16:17], v[18:19], v[48:49], v[16:17] op_sel:[0,0,1] op_sel_hi:[1,1,0] neg_lo:[0,0,1] neg_hi:[0,0,1]
	v_pk_add_f32 v[20:21], v[20:21], v[34:35]
	v_mov_b32_e32 v33, v17
	v_pk_add_f32 v[16:17], v[28:29], v[22:23]
	v_pk_add_f32 v[18:19], v[22:23], v[32:33]
	v_pk_add_f32 v[22:23], v[22:23], v[32:33] neg_lo:[0,1] neg_hi:[0,1]
	v_pk_fma_f32 v[18:19], v[18:19], 0.5, v[28:29] op_sel_hi:[1,0,1] neg_lo:[1,0,0] neg_hi:[1,0,0]
	v_pk_mul_f32 v[22:23], v[22:23], s[2:3] op_sel_hi:[1,0]
	v_pk_add_f32 v[16:17], v[16:17], v[32:33]
	v_pk_add_f32 v[28:29], v[18:19], v[22:23] op_sel:[0,1] op_sel_hi:[1,0] neg_lo:[0,1] neg_hi:[0,1]
	v_pk_add_f32 v[18:19], v[18:19], v[22:23] op_sel:[0,1] op_sel_hi:[1,0]
	v_mov_b32_e32 v22, v28
	v_mov_b32_e32 v23, v19
	v_mov_b32_e32 v19, v29
	ds_write2_b64 v239, v[16:17], v[22:23] offset1:48
	ds_write_b64 v239, v[18:19] offset:768
	v_pk_add_f32 v[16:17], v[106:107], v[34:35]
	v_pk_add_f32 v[18:19], v[106:107], v[34:35] neg_lo:[0,1] neg_hi:[0,1]
	v_pk_fma_f32 v[16:17], v[16:17], 0.5, v[30:31] op_sel_hi:[1,0,1] neg_lo:[1,0,0] neg_hi:[1,0,0]
	v_pk_mul_f32 v[18:19], v[18:19], s[2:3] op_sel_hi:[1,0]
	s_nop 0
	v_pk_add_f32 v[22:23], v[16:17], v[18:19] op_sel:[0,1] op_sel_hi:[1,0] neg_lo:[0,1] neg_hi:[0,1]
	v_pk_add_f32 v[16:17], v[16:17], v[18:19] op_sel:[0,1] op_sel_hi:[1,0]
	v_mov_b32_e32 v18, v22
	v_mov_b32_e32 v19, v17
	v_mov_b32_e32 v17, v23
	ds_write2_b64 v235, v[20:21], v[18:19] offset1:48
	ds_write_b64 v235, v[16:17] offset:768
	v_pk_add_f32 v[16:17], v[98:99], v[104:105]
	v_pk_add_f32 v[18:19], v[98:99], v[104:105] neg_lo:[0,1] neg_hi:[0,1]
	v_pk_fma_f32 v[16:17], v[16:17], 0.5, v[44:45] op_sel_hi:[1,0,1] neg_lo:[1,0,0] neg_hi:[1,0,0]
	v_pk_mul_f32 v[18:19], v[18:19], s[2:3] op_sel_hi:[1,0]
	s_nop 0
	;; [unrolled: 12-line block ×3, first 2 shown]
	v_pk_add_f32 v[20:21], v[16:17], v[18:19] op_sel:[0,1] op_sel_hi:[1,0] neg_lo:[0,1] neg_hi:[0,1]
	v_pk_add_f32 v[16:17], v[16:17], v[18:19] op_sel:[0,1] op_sel_hi:[1,0]
	v_mov_b32_e32 v18, v20
	v_mov_b32_e32 v19, v17
	v_mov_b32_e32 v17, v21
	ds_write_b64 v115, v[16:17] offset:768
	v_pk_add_f32 v[16:17], v[72:73], v[80:81]
	ds_write2_b64 v115, v[88:89], v[18:19] offset1:48
	v_pk_add_f32 v[16:17], v[16:17], v[90:91]
	ds_write2_b64 v242, v[16:17], v[94:95] offset1:48
	ds_write_b64 v242, v[0:1] offset:768
	ds_write2_b64 v243, v[2:3], v[24:25] offset1:48
	ds_write_b64 v243, v[26:27] offset:768
	s_waitcnt lgkmcnt(0)
	; wave barrier
	s_waitcnt lgkmcnt(0)
	ds_read2_b64 v[16:19], v108 offset1:56
	ds_read2_b64 v[32:35], v108 offset0:144 offset1:200
	ds_read2_b64 v[20:23], v79 offset0:32 offset1:88
	;; [unrolled: 1-line block ×6, first 2 shown]
	s_and_saveexec_b64 s[2:3], s[0:1]
	s_xor_b64 s[0:1], exec, s[2:3]
	s_andn2_saveexec_b64 s[0:1], s[0:1]
	s_cbranch_execz .LBB0_7
; %bb.6:
	v_add_u32_e32 v1, 0x1400, v108
	v_add_u32_e32 v0, 0x200, v108
	ds_read2_b64 v[52:55], v1 offset0:48 offset1:192
	ds_read_b64 v[76:77], v108 offset:7808
	v_add_u32_e32 v1, 0xc00, v108
	ds_read2_b64 v[24:27], v1 offset0:16 offset1:160
	ds_read2_b64 v[0:3], v0 offset0:48 offset1:192
	s_waitcnt lgkmcnt(3)
	v_mov_b32_e32 v102, v55
	s_waitcnt lgkmcnt(2)
	v_mov_b32_e32 v103, v77
	v_mov_b32_e32 v55, v76
	s_waitcnt lgkmcnt(1)
	v_mov_b32_e32 v76, v25
	s_waitcnt lgkmcnt(0)
	v_mov_b32_e32 v77, v2
.LBB0_7:
	s_or_b64 exec, exec, s[0:1]
	s_waitcnt lgkmcnt(3)
	v_pk_mul_f32 v[88:89], v[64:65], v[72:73] op_sel:[0,1] op_sel_hi:[1,0]
	v_pk_mul_f32 v[78:79], v[60:61], v[32:33] op_sel_hi:[1,0]
	v_mov_b32_e32 v2, v33
	v_mov_b32_e32 v88, v89
	s_waitcnt lgkmcnt(2)
	v_pk_mul_f32 v[90:91], v[66:67], v[48:49] op_sel:[0,1] op_sel_hi:[1,0]
	v_pk_mul_f32 v[80:81], v[62:63], v[20:21] op_sel_hi:[1,0]
	v_mov_b32_e32 v82, v21
	v_pk_mul_f32 v[84:85], v[64:65], v[72:73]
	v_mov_b32_e32 v86, v65
	v_pk_fma_f32 v[64:65], v[64:65], v[72:73], v[88:89] op_sel:[0,1,0] op_sel_hi:[1,0,1] neg_lo:[0,0,1] neg_hi:[0,0,1]
	v_mov_b32_e32 v88, v67
	v_mov_b32_e32 v90, v91
	v_pk_fma_f32 v[162:163], v[60:61], v[2:3], v[78:79] op_sel:[0,0,1] op_sel_hi:[1,1,0] neg_lo:[0,0,1] neg_hi:[0,0,1]
	v_pk_fma_f32 v[32:33], v[60:61], v[32:33], v[78:79] op_sel:[0,1,1] op_sel_hi:[1,1,0]
	v_pk_mul_f32 v[86:87], v[86:87], v[72:73] op_sel:[0,1] op_sel_hi:[1,0]
	v_pk_mul_f32 v[72:73], v[66:67], v[48:49]
	v_pk_mul_f32 v[88:89], v[88:89], v[48:49] op_sel:[0,1] op_sel_hi:[1,0]
	v_pk_fma_f32 v[48:49], v[66:67], v[48:49], v[90:91] op_sel:[0,1,0] op_sel_hi:[1,0,1] neg_lo:[0,0,1] neg_hi:[0,0,1]
	s_waitcnt lgkmcnt(1)
	v_pk_mul_f32 v[66:67], v[56:57], v[44:45] op_sel_hi:[1,0]
	v_mov_b32_e32 v90, v45
	v_mov_b32_e32 v163, v33
	v_pk_fma_f32 v[32:33], v[62:63], v[82:83], v[80:81] op_sel:[0,0,1] op_sel_hi:[1,1,0] neg_lo:[0,0,1] neg_hi:[0,0,1]
	v_pk_fma_f32 v[20:21], v[62:63], v[20:21], v[80:81] op_sel:[0,1,1] op_sel_hi:[1,1,0]
	s_waitcnt lgkmcnt(0)
	v_pk_mul_f32 v[92:93], v[58:59], v[28:29] op_sel_hi:[1,0]
	v_mov_b32_e32 v94, v29
	v_mov_b32_e32 v33, v21
	v_pk_fma_f32 v[20:21], v[56:57], v[90:91], v[66:67] op_sel:[0,0,1] op_sel_hi:[1,1,0] neg_lo:[0,0,1] neg_hi:[0,0,1]
	v_pk_fma_f32 v[44:45], v[56:57], v[44:45], v[66:67] op_sel:[0,1,1] op_sel_hi:[1,1,0]
	v_pk_fma_f32 v[28:29], v[58:59], v[28:29], v[92:93] op_sel:[0,1,1] op_sel_hi:[1,1,0]
	v_mov_b32_e32 v21, v45
	v_pk_fma_f32 v[44:45], v[58:59], v[94:95], v[92:93] op_sel:[0,0,1] op_sel_hi:[1,1,0] neg_lo:[0,0,1] neg_hi:[0,0,1]
	v_mov_b32_e32 v73, v162
	v_mov_b32_e32 v45, v29
	;; [unrolled: 1-line block ×5, first 2 shown]
	v_pk_add_f32 v[28:29], v[162:163], v[44:45]
	v_pk_add_f32 v[56:57], v[162:163], v[44:45] neg_lo:[0,1] neg_hi:[0,1]
	v_pk_add_f32 v[58:59], v[32:33], v[20:21]
	v_pk_add_f32 v[60:61], v[32:33], v[20:21] neg_lo:[0,1] neg_hi:[0,1]
	v_pk_add_f32 v[44:45], v[72:73], v[88:89]
	v_pk_add_f32 v[20:21], v[84:85], v[86:87]
	v_mov_b32_e32 v49, v44
	v_mov_b32_e32 v65, v20
	v_pk_add_f32 v[32:33], v[48:49], v[64:65] neg_lo:[0,1] neg_hi:[0,1]
	v_mov_b32_e32 v78, v59
	v_mov_b32_e32 v79, v64
	;; [unrolled: 1-line block ×8, first 2 shown]
	s_mov_b32 s0, 0x3f08b237
	v_pk_add_f32 v[48:49], v[78:79], v[64:65]
	v_pk_add_f32 v[64:65], v[20:21], v[44:45]
	s_mov_b32 s8, 0x3d64c772
	v_pk_add_f32 v[62:63], v[62:63], v[66:67] neg_lo:[0,1] neg_hi:[0,1]
	s_mov_b32 s1, 0xbeae86e6
	v_mov_b32_e32 v66, v56
	v_mov_b32_e32 v72, v32
	v_mov_b32_e32 v73, v61
	v_mov_b32_e32 v44, v64
	v_mov_b32_e32 v79, v49
	v_mov_b32_e32 v80, v29
	v_mov_b32_e32 v81, v49
	v_mov_b32_e32 v20, v64
	s_mov_b32 s9, 0x3f4a47b2
	v_pk_add_f32 v[66:67], v[66:67], v[72:73] neg_lo:[0,1] neg_hi:[0,1]
	s_mov_b32 s16, s1
	s_mov_b32 s17, s0
	v_pk_add_f32 v[78:79], v[44:45], v[78:79] neg_lo:[0,1] neg_hi:[0,1]
	v_pk_add_f32 v[80:81], v[80:81], v[20:21] neg_lo:[0,1] neg_hi:[0,1]
	s_mov_b32 s20, s9
	s_mov_b32 s21, s8
	v_pk_mul_f32 v[62:63], v[62:63], s[0:1]
	v_pk_mul_f32 v[72:73], v[66:67], s[16:17]
	v_pk_add_f32 v[32:33], v[32:33], v[60:61]
	v_pk_add_f32 v[48:49], v[48:49], v[64:65]
	v_pk_mul_f32 v[64:65], v[78:79], s[8:9]
	v_pk_mul_f32 v[78:79], v[80:81], s[20:21]
	v_mov_b32_e32 v20, v59
	v_mov_b32_e32 v44, v29
	v_pk_add_f32 v[32:33], v[32:33], v[56:57]
	v_pk_add_f32 v[16:17], v[16:17], v[48:49]
	s_mov_b32 s18, 0x3f955555
	v_pk_add_f32 v[56:57], v[60:61], v[56:57] neg_lo:[0,1] neg_hi:[0,1]
	s_mov_b32 s14, 0xbf5ff5aa
	v_pk_add_f32 v[20:21], v[20:21], v[44:45] neg_lo:[0,1] neg_hi:[0,1]
	v_mov_b32_e32 v28, v78
	v_mov_b32_e32 v29, v65
	;; [unrolled: 1-line block ×4, first 2 shown]
	s_mov_b32 s2, 0xbee1c552
	v_pk_fma_f32 v[48:49], v[48:49], s[18:19], v[16:17] op_sel_hi:[1,0,1] neg_lo:[1,0,0] neg_hi:[1,0,0]
	v_pk_fma_f32 v[28:29], v[20:21], s[10:11], v[28:29] op_sel_hi:[1,0,1] neg_lo:[1,0,1] neg_hi:[1,0,1]
	;; [unrolled: 1-line block ×3, first 2 shown]
	v_pk_add_f32 v[28:29], v[28:29], v[48:49]
	v_pk_fma_f32 v[44:45], v[32:33], s[2:3], v[44:45] op_sel_hi:[1,0,1]
	v_pk_fma_f32 v[80:81], v[80:81], s[20:21], v[64:65]
	v_pk_add_f32 v[58:59], v[28:29], v[44:45]
	v_pk_add_f32 v[28:29], v[28:29], v[44:45] neg_lo:[0,1] neg_hi:[0,1]
	v_pk_fma_f32 v[66:67], v[66:67], s[16:17], v[62:63]
	v_mov_b32_e32 v44, v58
	v_mov_b32_e32 v45, v29
	;; [unrolled: 1-line block ×4, first 2 shown]
	ds_write_b64 v108, v[44:45] offset:2304
	v_pk_fma_f32 v[20:21], v[20:21], s[10:11], v[64:65] op_sel_hi:[1,0,1] neg_lo:[0,0,1] neg_hi:[0,0,1]
	v_pk_fma_f32 v[44:45], v[56:57], s[14:15], v[62:63] op_sel_hi:[1,0,1] neg_lo:[0,0,1] neg_hi:[0,0,1]
	v_pk_fma_f32 v[66:67], v[32:33], s[2:3], v[66:67] op_sel_hi:[1,0,1]
	v_pk_add_f32 v[20:21], v[20:21], v[48:49]
	v_pk_fma_f32 v[32:33], v[32:33], s[2:3], v[44:45] op_sel_hi:[1,0,1]
	v_pk_mul_f32 v[154:155], v[68:69], v[74:75] op_sel:[0,1] op_sel_hi:[1,0]
	v_pk_add_f32 v[44:45], v[20:21], v[32:33] neg_lo:[0,1] neg_hi:[0,1]
	v_pk_add_f32 v[20:21], v[20:21], v[32:33]
	v_pk_mul_f32 v[96:97], v[40:41], v[34:35] op_sel_hi:[1,0]
	v_mov_b32_e32 v98, v35
	v_mov_b32_e32 v154, v155
	v_pk_mul_f32 v[156:157], v[70:71], v[50:51] op_sel:[0,1] op_sel_hi:[1,0]
	v_mov_b32_e32 v33, v21
	v_mov_b32_e32 v21, v45
	;; [unrolled: 1-line block ×3, first 2 shown]
	v_pk_mul_f32 v[104:105], v[42:43], v[22:23] op_sel_hi:[1,0]
	v_mov_b32_e32 v106, v23
	v_pk_mul_f32 v[150:151], v[68:69], v[74:75]
	v_mov_b32_e32 v152, v69
	v_pk_fma_f32 v[68:69], v[68:69], v[74:75], v[154:155] op_sel:[0,1,0] op_sel_hi:[1,0,1] neg_lo:[0,0,1] neg_hi:[0,0,1]
	v_mov_b32_e32 v154, v71
	v_mov_b32_e32 v156, v157
	ds_write_b64 v108, v[20:21] offset:4608
	ds_write_b64 v108, v[28:29] offset:5760
	v_pk_fma_f32 v[20:21], v[40:41], v[98:99], v[96:97] op_sel:[0,0,1] op_sel_hi:[1,1,0] neg_lo:[0,0,1] neg_hi:[0,0,1]
	v_pk_fma_f32 v[28:29], v[40:41], v[34:35], v[96:97] op_sel:[0,1,1] op_sel_hi:[1,1,0]
	v_pk_mul_f32 v[152:153], v[152:153], v[74:75] op_sel:[0,1] op_sel_hi:[1,0]
	v_pk_mul_f32 v[74:75], v[70:71], v[50:51]
	v_pk_mul_f32 v[154:155], v[154:155], v[50:51] op_sel:[0,1] op_sel_hi:[1,0]
	v_pk_fma_f32 v[50:51], v[70:71], v[50:51], v[156:157] op_sel:[0,1,0] op_sel_hi:[1,0,1] neg_lo:[0,0,1] neg_hi:[0,0,1]
	v_pk_mul_f32 v[70:71], v[36:37], v[46:47] op_sel_hi:[1,0]
	v_mov_b32_e32 v156, v47
	v_mov_b32_e32 v32, v44
	;; [unrolled: 1-line block ×3, first 2 shown]
	v_pk_fma_f32 v[28:29], v[42:43], v[106:107], v[104:105] op_sel:[0,0,1] op_sel_hi:[1,1,0] neg_lo:[0,0,1] neg_hi:[0,0,1]
	v_pk_fma_f32 v[22:23], v[42:43], v[22:23], v[104:105] op_sel:[0,1,1] op_sel_hi:[1,1,0]
	v_pk_mul_f32 v[158:159], v[38:39], v[30:31] op_sel_hi:[1,0]
	v_mov_b32_e32 v160, v31
	ds_write_b64 v108, v[32:33] offset:3456
	v_mov_b32_e32 v29, v23
	v_pk_fma_f32 v[22:23], v[36:37], v[156:157], v[70:71] op_sel:[0,0,1] op_sel_hi:[1,1,0] neg_lo:[0,0,1] neg_hi:[0,0,1]
	v_pk_fma_f32 v[32:33], v[36:37], v[46:47], v[70:71] op_sel:[0,1,1] op_sel_hi:[1,1,0]
	v_pk_fma_f32 v[30:31], v[38:39], v[30:31], v[158:159] op_sel:[0,1,1] op_sel_hi:[1,1,0]
	v_mov_b32_e32 v23, v33
	v_pk_fma_f32 v[32:33], v[38:39], v[160:161], v[158:159] op_sel:[0,0,1] op_sel_hi:[1,1,0] neg_lo:[0,0,1] neg_hi:[0,0,1]
	v_mov_b32_e32 v75, v20
	v_mov_b32_e32 v33, v31
	;; [unrolled: 1-line block ×5, first 2 shown]
	v_pk_add_f32 v[30:31], v[20:21], v[32:33]
	v_pk_add_f32 v[34:35], v[20:21], v[32:33] neg_lo:[0,1] neg_hi:[0,1]
	v_pk_add_f32 v[36:37], v[28:29], v[22:23]
	v_pk_add_f32 v[38:39], v[28:29], v[22:23] neg_lo:[0,1] neg_hi:[0,1]
	v_pk_add_f32 v[20:21], v[74:75], v[154:155]
	v_pk_add_f32 v[22:23], v[150:151], v[152:153]
	v_mov_b32_e32 v51, v20
	v_mov_b32_e32 v69, v22
	v_mov_b32_e32 v44, v37
	v_mov_b32_e32 v45, v68
	v_mov_b32_e32 v46, v31
	v_mov_b32_e32 v47, v50
	v_pk_add_f32 v[28:29], v[50:51], v[68:69] neg_lo:[0,1] neg_hi:[0,1]
	v_pk_add_f32 v[44:45], v[44:45], v[46:47]
	v_pk_add_f32 v[46:47], v[22:23], v[20:21]
	;; [unrolled: 1-line block ×3, first 2 shown]
	v_mov_b32_e32 v32, v28
	v_mov_b32_e32 v33, v35
	;; [unrolled: 1-line block ×7, first 2 shown]
	v_pk_add_f32 v[32:33], v[32:33], v[40:41] neg_lo:[0,1] neg_hi:[0,1]
	v_mov_b32_e32 v40, v34
	v_mov_b32_e32 v42, v28
	;; [unrolled: 1-line block ×3, first 2 shown]
	v_pk_add_f32 v[48:49], v[20:21], v[48:49] neg_lo:[0,1] neg_hi:[0,1]
	v_mov_b32_e32 v50, v31
	v_mov_b32_e32 v51, v45
	;; [unrolled: 1-line block ×3, first 2 shown]
	v_pk_add_f32 v[44:45], v[44:45], v[46:47]
	v_pk_mul_f32 v[32:33], v[32:33], s[0:1]
	v_pk_add_f32 v[40:41], v[40:41], v[42:43] neg_lo:[0,1] neg_hi:[0,1]
	v_pk_add_f32 v[28:29], v[28:29], v[38:39]
	v_pk_add_f32 v[50:51], v[50:51], v[22:23] neg_lo:[0,1] neg_hi:[0,1]
	v_pk_add_f32 v[18:19], v[18:19], v[44:45]
	v_pk_mul_f32 v[46:47], v[48:49], s[8:9]
	v_pk_mul_f32 v[42:43], v[40:41], s[16:17]
	v_pk_add_f32 v[28:29], v[28:29], v[34:35]
	v_pk_mul_f32 v[48:49], v[50:51], s[20:21]
	v_pk_fma_f32 v[44:45], v[44:45], s[18:19], v[18:19] op_sel_hi:[1,0,1] neg_lo:[1,0,0] neg_hi:[1,0,0]
	v_pk_fma_f32 v[50:51], v[50:51], s[20:21], v[46:47]
	v_pk_fma_f32 v[40:41], v[40:41], s[16:17], v[32:33]
	v_pk_add_f32 v[82:83], v[80:81], v[66:67]
	v_pk_add_f32 v[66:67], v[80:81], v[66:67] neg_lo:[0,1] neg_hi:[0,1]
	v_pk_add_f32 v[50:51], v[50:51], v[44:45]
	v_pk_fma_f32 v[40:41], v[28:29], s[2:3], v[40:41] op_sel_hi:[1,0,1]
	v_mov_b32_e32 v80, v82
	v_mov_b32_e32 v81, v67
	;; [unrolled: 1-line block ×3, first 2 shown]
	v_pk_add_f32 v[56:57], v[50:51], v[40:41]
	v_pk_add_f32 v[40:41], v[50:51], v[40:41] neg_lo:[0,1] neg_hi:[0,1]
	ds_write_b64 v108, v[80:81] offset:1152
	ds_write_b64 v108, v[66:67] offset:6912
	ds_write2_b64 v108, v[16:17], v[18:19] offset1:56
	v_mov_b32_e32 v16, v56
	v_mov_b32_e32 v17, v41
	;; [unrolled: 1-line block ×4, first 2 shown]
	ds_write_b64 v108, v[16:17] offset:1600
	v_pk_add_f32 v[16:17], v[38:39], v[34:35] neg_lo:[0,1] neg_hi:[0,1]
	v_pk_add_f32 v[18:19], v[22:23], v[20:21] neg_lo:[0,1] neg_hi:[0,1]
	v_mov_b32_e32 v20, v48
	v_mov_b32_e32 v21, v47
	;; [unrolled: 1-line block ×4, first 2 shown]
	v_pk_fma_f32 v[20:21], v[18:19], s[10:11], v[20:21] op_sel_hi:[1,0,1] neg_lo:[1,0,1] neg_hi:[1,0,1]
	v_pk_fma_f32 v[22:23], v[16:17], s[14:15], v[22:23] op_sel_hi:[1,0,1] neg_lo:[1,0,1] neg_hi:[1,0,1]
	v_pk_add_f32 v[20:21], v[20:21], v[44:45]
	v_pk_fma_f32 v[22:23], v[28:29], s[2:3], v[22:23] op_sel_hi:[1,0,1]
	v_mov_b32_e32 v47, v49
	v_mov_b32_e32 v33, v43
	v_pk_add_f32 v[30:31], v[20:21], v[22:23]
	v_pk_add_f32 v[20:21], v[20:21], v[22:23] neg_lo:[0,1] neg_hi:[0,1]
	v_pk_fma_f32 v[18:19], v[18:19], s[10:11], v[46:47] op_sel_hi:[1,0,1] neg_lo:[0,0,1] neg_hi:[0,0,1]
	v_pk_fma_f32 v[16:17], v[16:17], s[14:15], v[32:33] op_sel_hi:[1,0,1] neg_lo:[0,0,1] neg_hi:[0,0,1]
	v_mov_b32_e32 v22, v30
	v_mov_b32_e32 v23, v21
	v_pk_add_f32 v[18:19], v[18:19], v[44:45]
	v_pk_fma_f32 v[16:17], v[28:29], s[2:3], v[16:17] op_sel_hi:[1,0,1]
	ds_write_b64 v108, v[22:23] offset:2752
	v_pk_add_f32 v[22:23], v[18:19], v[16:17] neg_lo:[0,1] neg_hi:[0,1]
	v_pk_add_f32 v[16:17], v[18:19], v[16:17]
	v_mov_b32_e32 v18, v22
	v_mov_b32_e32 v19, v17
	v_mov_b32_e32 v17, v23
	v_mov_b32_e32 v21, v31
	v_mov_b32_e32 v41, v57
	ds_write_b64 v108, v[18:19] offset:3904
	ds_write_b64 v108, v[16:17] offset:5056
	;; [unrolled: 1-line block ×4, first 2 shown]
	s_and_saveexec_b64 s[16:17], vcc
	s_cbranch_execz .LBB0_9
; %bb.8:
	v_pk_mul_f32 v[16:17], v[4:5], v[76:77] op_sel:[0,1]
	v_mov_b32_e32 v2, v3
	v_mov_b32_e32 v18, v3
	v_pk_mul_f32 v[30:31], v[8:9], v[54:55] op_sel_hi:[1,0]
	v_pk_mul_f32 v[32:33], v[12:13], v[26:27] op_sel:[1,0] op_sel_hi:[0,1]
	v_pk_fma_f32 v[2:3], v[4:5], v[2:3], v[16:17] op_sel:[0,0,1] op_sel_hi:[1,1,0] neg_lo:[0,0,1] neg_hi:[0,0,1]
	v_pk_fma_f32 v[4:5], v[4:5], v[18:19], v[16:17] op_sel:[0,0,1] op_sel_hi:[1,0,0]
	v_pk_mul_f32 v[20:21], v[10:11], v[54:55] op_sel:[0,1]
	v_mov_b32_e32 v22, v53
	v_pk_mul_f32 v[24:25], v[6:7], v[24:25] op_sel_hi:[1,0]
	v_mov_b32_e32 v32, v33
	v_mov_b32_e32 v3, v5
	v_pk_fma_f32 v[4:5], v[8:9], v[102:103], v[30:31] op_sel:[0,0,1] op_sel_hi:[1,1,0] neg_lo:[0,0,1] neg_hi:[0,0,1]
	v_pk_fma_f32 v[8:9], v[8:9], v[102:103], v[30:31] op_sel:[0,0,1] op_sel_hi:[1,0,0]
	v_pk_mul_f32 v[14:15], v[14:15], v[52:53]
	v_pk_mul_f32 v[22:23], v[100:101], v[22:23]
	v_pk_mul_f32 v[28:29], v[12:13], v[26:27]
	v_pk_fma_f32 v[12:13], v[12:13], v[26:27], v[32:33] op_sel:[1,0,0] op_sel_hi:[0,1,1] neg_lo:[1,0,0] neg_hi:[1,0,0]
	v_pk_fma_f32 v[32:33], v[10:11], v[102:103], v[20:21] op_sel:[0,1,1] op_sel_hi:[1,1,0] neg_lo:[0,0,1] neg_hi:[0,0,1]
	v_pk_fma_f32 v[10:11], v[10:11], v[102:103], v[20:21] op_sel:[0,1,1] op_sel_hi:[1,1,0]
	v_mov_b32_e32 v5, v9
	v_pk_fma_f32 v[8:9], v[6:7], v[76:77], v[24:25] op_sel:[0,0,1] op_sel_hi:[1,1,0] neg_lo:[0,0,1] neg_hi:[0,0,1]
	v_pk_fma_f32 v[6:7], v[6:7], v[76:77], v[24:25] op_sel:[0,0,1] op_sel_hi:[1,0,0]
	v_pk_mul_f32 v[26:27], v[100:101], v[52:53]
	v_mov_b32_e32 v33, v11
	v_mov_b32_e32 v9, v7
	;; [unrolled: 1-line block ×5, first 2 shown]
	v_pk_add_f32 v[6:7], v[32:33], v[2:3]
	v_pk_add_f32 v[10:11], v[4:5], v[8:9]
	v_pk_add_f32 v[16:17], v[2:3], v[32:33] neg_lo:[0,1] neg_hi:[0,1]
	v_pk_add_f32 v[18:19], v[8:9], v[4:5] neg_lo:[0,1] neg_hi:[0,1]
	v_pk_add_f32 v[2:3], v[14:15], v[22:23]
	v_mov_b32_e32 v14, v28
	v_mov_b32_e32 v15, v4
	;; [unrolled: 1-line block ×4, first 2 shown]
	v_pk_fma_f32 v[26:27], v[100:101], v[52:53], v[26:27] neg_lo:[1,0,0] neg_hi:[1,0,0]
	v_pk_add_f32 v[4:5], v[14:15], v[4:5]
	v_mov_b32_e32 v27, v2
	v_mov_b32_e32 v13, v4
	v_pk_add_f32 v[8:9], v[26:27], v[12:13] neg_lo:[0,1] neg_hi:[0,1]
	v_mov_b32_e32 v24, v11
	v_mov_b32_e32 v25, v12
	;; [unrolled: 1-line block ×4, first 2 shown]
	v_pk_add_f32 v[22:23], v[8:9], v[18:19]
	v_pk_add_f32 v[12:13], v[24:25], v[12:13]
	;; [unrolled: 1-line block ×3, first 2 shown]
	v_pk_add_f32 v[14:15], v[16:17], v[8:9] neg_lo:[0,1] neg_hi:[0,1]
	v_pk_add_f32 v[22:23], v[22:23], v[16:17]
	v_pk_add_f32 v[16:17], v[18:19], v[16:17] neg_lo:[0,1] neg_hi:[0,1]
	v_mov_b32_e32 v2, v7
	v_mov_b32_e32 v6, v24
	;; [unrolled: 1-line block ×4, first 2 shown]
	v_pk_mul_f32 v[16:17], v[16:17], s[14:15] op_sel_hi:[1,0]
	v_pk_add_f32 v[26:27], v[2:3], v[6:7] neg_lo:[0,1] neg_hi:[0,1]
	s_mov_b32 s14, s9
	v_pk_add_f32 v[12:13], v[12:13], v[24:25]
	v_pk_add_f32 v[2:3], v[4:5], v[2:3] neg_lo:[0,1] neg_hi:[0,1]
	s_mov_b32 s18, s1
	v_pk_mul_f32 v[26:27], v[26:27], s[14:15] op_sel_hi:[1,0]
	v_pk_add_f32 v[0:1], v[0:1], v[12:13]
	s_mov_b32 s14, 0xbf955555
	v_pk_mul_f32 v[10:11], v[2:3], s[10:11] op_sel_hi:[1,0]
	v_pk_add_f32 v[8:9], v[8:9], v[18:19] neg_lo:[0,1] neg_hi:[0,1]
	v_pk_add_f32 v[4:5], v[6:7], v[4:5] neg_lo:[0,1] neg_hi:[0,1]
	v_pk_mul_f32 v[20:21], v[14:15], s[18:19] op_sel_hi:[1,0]
	v_pk_fma_f32 v[12:13], v[12:13], s[14:15], v[0:1] op_sel_hi:[1,0,1]
	v_pk_fma_f32 v[14:15], v[14:15], s[18:19], v[16:17] op_sel_hi:[1,0,1] neg_lo:[1,0,1] neg_hi:[1,0,1]
	v_pk_fma_f32 v[2:3], v[2:3], s[10:11], v[26:27] op_sel_hi:[1,0,1] neg_lo:[1,0,1] neg_hi:[1,0,1]
	;; [unrolled: 1-line block ×4, first 2 shown]
	v_pk_fma_f32 v[14:15], v[22:23], s[2:3], v[14:15] op_sel_hi:[1,0,1]
	v_pk_add_f32 v[2:3], v[2:3], v[12:13]
	v_pk_fma_f32 v[6:7], v[22:23], s[2:3], v[6:7] op_sel_hi:[1,0,1]
	v_pk_add_f32 v[10:11], v[10:11], v[12:13]
	v_pk_add_f32 v[24:25], v[2:3], v[14:15]
	v_pk_add_f32 v[2:3], v[2:3], v[14:15] neg_lo:[0,1] neg_hi:[0,1]
	v_pk_add_f32 v[16:17], v[10:11], v[6:7]
	v_pk_add_f32 v[6:7], v[10:11], v[6:7] neg_lo:[0,1] neg_hi:[0,1]
	v_mov_b32_e32 v14, v24
	v_mov_b32_e32 v15, v3
	;; [unrolled: 1-line block ×4, first 2 shown]
	v_add_u32_e32 v3, 0xc00, v108
	ds_write2_b64 v3, v[14:15], v[10:11] offset0:16 offset1:160
	v_mov_b32_e32 v17, v7
	v_mov_b32_e32 v3, v25
	v_add_u32_e32 v6, 0x1400, v108
	ds_write2_b64 v6, v[16:17], v[2:3] offset0:48 offset1:192
	v_pk_fma_f32 v[2:3], v[8:9], s[0:1], v[20:21] op_sel_hi:[1,0,1]
	v_pk_fma_f32 v[4:5], v[4:5], s[8:9], v[26:27] op_sel_hi:[1,0,1]
	;; [unrolled: 1-line block ×3, first 2 shown]
	v_pk_add_f32 v[4:5], v[4:5], v[12:13]
	s_nop 0
	v_pk_add_f32 v[6:7], v[4:5], v[2:3] neg_lo:[0,1] neg_hi:[0,1]
	v_pk_add_f32 v[2:3], v[4:5], v[2:3]
	v_mov_b32_e32 v5, v7
	v_mov_b32_e32 v4, v2
	v_add_u32_e32 v2, 0x200, v108
	v_mov_b32_e32 v7, v3
	ds_write2_b64 v2, v[0:1], v[4:5] offset0:48 offset1:192
	ds_write_b64 v108, v[6:7] offset:7808
.LBB0_9:
	s_or_b64 exec, exec, s[16:17]
	s_waitcnt lgkmcnt(0)
	; wave barrier
	s_waitcnt lgkmcnt(0)
	ds_read2_b64 v[4:7], v108 offset1:56
	v_mad_u64_u32 v[10:11], s[0:1], s6, v114, 0
	v_mov_b32_e32 v0, v11
	v_mad_u64_u32 v[0:1], s[0:1], s7, v114, v[0:1]
	v_mov_b32_e32 v11, v0
	s_waitcnt lgkmcnt(0)
	v_mul_f32_e32 v0, v129, v5
	v_fmac_f32_e32 v0, v128, v4
	s_mov_b32 s0, 0x10410410
	v_cvt_f64_f32_e32 v[0:1], v0
	s_mov_b32 s1, 0x3f504104
	v_mul_f64 v[0:1], v[0:1], s[0:1]
	v_cvt_f32_f64_e32 v12, v[0:1]
	v_mul_f32_e32 v0, v129, v4
	v_fma_f32 v0, v128, v5, -v0
	v_cvt_f64_f32_e32 v[0:1], v0
	v_mul_f64 v[0:1], v[0:1], s[0:1]
	v_mad_u64_u32 v[14:15], s[2:3], s4, v118, 0
	v_cvt_f32_f64_e32 v13, v[0:1]
	v_mov_b32_e32 v0, v15
	v_add_u32_e32 v16, 0x800, v108
	v_mad_u64_u32 v[4:5], s[2:3], s5, v118, v[0:1]
	ds_read2_b64 v[0:3], v16 offset0:192 offset1:248
	v_mov_b32_e32 v8, s12
	v_mov_b32_e32 v9, s13
	;; [unrolled: 1-line block ×3, first 2 shown]
	v_lshl_add_u64 v[4:5], v[10:11], 3, v[8:9]
	s_waitcnt lgkmcnt(0)
	v_mul_f32_e32 v10, v125, v3
	v_fmac_f32_e32 v10, v124, v2
	v_mul_f32_e32 v2, v125, v2
	v_fma_f32 v2, v124, v3, -v2
	v_cvt_f64_f32_e32 v[10:11], v10
	v_cvt_f64_f32_e32 v[2:3], v2
	v_lshl_add_u64 v[8:9], v[14:15], 3, v[4:5]
	v_mul_f64 v[10:11], v[10:11], s[0:1]
	v_mul_f64 v[2:3], v[2:3], s[0:1]
	v_mov_b32_e32 v17, 0xfc0
	global_store_dwordx2 v[8:9], v[12:13], off
	v_cvt_f32_f64_e32 v10, v[10:11]
	v_cvt_f32_f64_e32 v11, v[2:3]
	v_mad_u64_u32 v[2:3], s[2:3], s4, v17, v[8:9]
	v_mul_f32_e32 v8, v123, v7
	v_fmac_f32_e32 v8, v122, v6
	v_mul_f32_e32 v6, v123, v6
	v_fma_f32 v6, v122, v7, -v6
	s_mul_i32 s2, s5, 0xfc0
	v_cvt_f64_f32_e32 v[8:9], v8
	v_cvt_f64_f32_e32 v[6:7], v6
	v_add_u32_e32 v3, s2, v3
	v_mul_f64 v[8:9], v[8:9], s[0:1]
	v_mul_f64 v[6:7], v[6:7], s[0:1]
	v_add_u32_e32 v19, 0x1000, v108
	global_store_dwordx2 v[2:3], v[10:11], off
	v_cvt_f32_f64_e32 v10, v[8:9]
	v_cvt_f32_f64_e32 v11, v[6:7]
	ds_read2_b64 v[6:9], v19 offset0:48 offset1:104
	v_mov_b32_e32 v18, 0xfffff200
	s_mul_i32 s3, s5, 0xfffff200
	v_mad_u64_u32 v[2:3], s[6:7], s4, v18, v[2:3]
	s_sub_i32 s3, s3, s4
	v_add_u32_e32 v3, s3, v3
	global_store_dwordx2 v[2:3], v[10:11], off
	s_waitcnt lgkmcnt(0)
	v_mul_f32_e32 v10, v149, v7
	v_fmac_f32_e32 v10, v148, v6
	v_cvt_f64_f32_e32 v[10:11], v10
	v_mul_f64 v[10:11], v[10:11], s[0:1]
	v_cvt_f32_f64_e32 v14, v[10:11]
	ds_read2_b64 v[10:13], v108 offset0:112 offset1:168
	v_mul_f32_e32 v6, v149, v6
	v_fma_f32 v6, v148, v7, -v6
	v_cvt_f64_f32_e32 v[6:7], v6
	v_mul_f64 v[6:7], v[6:7], s[0:1]
	v_cvt_f32_f64_e32 v15, v[6:7]
	s_waitcnt lgkmcnt(0)
	v_mul_f32_e32 v6, v117, v11
	v_fmac_f32_e32 v6, v116, v10
	v_cvt_f64_f32_e32 v[6:7], v6
	v_mul_f64 v[6:7], v[6:7], s[0:1]
	v_cvt_f32_f64_e32 v6, v[6:7]
	v_mul_f32_e32 v7, v117, v10
	v_mad_u64_u32 v[2:3], s[6:7], s4, v17, v[2:3]
	v_fma_f32 v7, v116, v11, -v7
	v_add_u32_e32 v3, s2, v3
	v_cvt_f64_f32_e32 v[10:11], v7
	global_store_dwordx2 v[2:3], v[14:15], off
	v_mul_f64 v[10:11], v[10:11], s[0:1]
	v_mad_u64_u32 v[2:3], s[6:7], s4, v18, v[2:3]
	v_cvt_f32_f64_e32 v7, v[10:11]
	v_add_u32_e32 v3, s3, v3
	global_store_dwordx2 v[2:3], v[6:7], off
	v_mul_f32_e32 v6, v147, v9
	v_fmac_f32_e32 v6, v146, v8
	v_cvt_f64_f32_e32 v[6:7], v6
	v_mul_f64 v[6:7], v[6:7], s[0:1]
	v_cvt_f32_f64_e32 v6, v[6:7]
	v_mul_f32_e32 v7, v147, v8
	v_fma_f32 v7, v146, v9, -v7
	v_cvt_f64_f32_e32 v[8:9], v7
	v_mul_f64 v[8:9], v[8:9], s[0:1]
	v_mad_u64_u32 v[2:3], s[6:7], s4, v17, v[2:3]
	v_cvt_f32_f64_e32 v7, v[8:9]
	v_add_u32_e32 v3, s2, v3
	global_store_dwordx2 v[2:3], v[6:7], off
	v_mul_f32_e32 v6, v113, v13
	v_fmac_f32_e32 v6, v112, v12
	v_cvt_f64_f32_e32 v[6:7], v6
	v_mul_f64 v[6:7], v[6:7], s[0:1]
	v_cvt_f32_f64_e32 v10, v[6:7]
	v_mul_f32_e32 v6, v113, v12
	v_fma_f32 v6, v112, v13, -v6
	v_cvt_f64_f32_e32 v[6:7], v6
	v_mul_f64 v[6:7], v[6:7], s[0:1]
	v_cvt_f32_f64_e32 v11, v[6:7]
	ds_read2_b64 v[6:9], v19 offset0:160 offset1:216
	v_mad_u64_u32 v[2:3], s[6:7], s4, v18, v[2:3]
	v_add_u32_e32 v3, s3, v3
	global_store_dwordx2 v[2:3], v[10:11], off
	s_waitcnt lgkmcnt(0)
	v_mul_f32_e32 v10, v143, v7
	v_fmac_f32_e32 v10, v142, v6
	v_mul_f32_e32 v6, v143, v6
	v_fma_f32 v6, v142, v7, -v6
	v_cvt_f64_f32_e32 v[6:7], v6
	v_cvt_f64_f32_e32 v[10:11], v10
	v_mul_f64 v[6:7], v[6:7], s[0:1]
	v_mul_f64 v[10:11], v[10:11], s[0:1]
	v_cvt_f32_f64_e32 v15, v[6:7]
	v_add_u32_e32 v6, 0x400, v108
	v_cvt_f32_f64_e32 v14, v[10:11]
	ds_read2_b64 v[10:13], v6 offset0:96 offset1:152
	v_mad_u64_u32 v[2:3], s[6:7], s4, v17, v[2:3]
	v_add_u32_e32 v3, s2, v3
	global_store_dwordx2 v[2:3], v[14:15], off
	s_waitcnt lgkmcnt(0)
	v_mul_f32_e32 v6, v145, v11
	v_fmac_f32_e32 v6, v144, v10
	v_cvt_f64_f32_e32 v[6:7], v6
	v_mul_f64 v[6:7], v[6:7], s[0:1]
	v_cvt_f32_f64_e32 v6, v[6:7]
	v_mul_f32_e32 v7, v145, v10
	v_fma_f32 v7, v144, v11, -v7
	v_cvt_f64_f32_e32 v[10:11], v7
	v_mul_f64 v[10:11], v[10:11], s[0:1]
	v_mad_u64_u32 v[2:3], s[6:7], s4, v18, v[2:3]
	v_cvt_f32_f64_e32 v7, v[10:11]
	v_add_u32_e32 v3, s3, v3
	global_store_dwordx2 v[2:3], v[6:7], off
	v_mul_f32_e32 v6, v137, v9
	v_fmac_f32_e32 v6, v136, v8
	v_cvt_f64_f32_e32 v[6:7], v6
	v_mul_f64 v[6:7], v[6:7], s[0:1]
	v_cvt_f32_f64_e32 v6, v[6:7]
	v_mul_f32_e32 v7, v137, v8
	v_fma_f32 v7, v136, v9, -v7
	v_cvt_f64_f32_e32 v[8:9], v7
	v_mul_f64 v[8:9], v[8:9], s[0:1]
	v_mad_u64_u32 v[2:3], s[6:7], s4, v17, v[2:3]
	v_cvt_f32_f64_e32 v7, v[8:9]
	v_add_u32_e32 v3, s2, v3
	global_store_dwordx2 v[2:3], v[6:7], off
	v_mul_f32_e32 v6, v141, v13
	v_fmac_f32_e32 v6, v140, v12
	v_cvt_f64_f32_e32 v[6:7], v6
	v_mul_f64 v[6:7], v[6:7], s[0:1]
	v_cvt_f32_f64_e32 v10, v[6:7]
	v_mul_f32_e32 v6, v141, v12
	v_fma_f32 v6, v140, v13, -v6
	v_cvt_f64_f32_e32 v[6:7], v6
	v_mul_f64 v[6:7], v[6:7], s[0:1]
	v_add_u32_e32 v19, 0x1800, v108
	v_cvt_f32_f64_e32 v11, v[6:7]
	ds_read2_b64 v[6:9], v19 offset0:16 offset1:72
	v_mad_u64_u32 v[2:3], s[6:7], s4, v18, v[2:3]
	v_add_u32_e32 v3, s3, v3
	global_store_dwordx2 v[2:3], v[10:11], off
	s_waitcnt lgkmcnt(0)
	v_mul_f32_e32 v10, v139, v7
	v_fmac_f32_e32 v10, v138, v6
	v_cvt_f64_f32_e32 v[10:11], v10
	v_mul_f64 v[10:11], v[10:11], s[0:1]
	v_cvt_f32_f64_e32 v14, v[10:11]
	ds_read2_b64 v[10:13], v16 offset0:80 offset1:136
	v_mul_f32_e32 v6, v139, v6
	v_fma_f32 v6, v138, v7, -v6
	v_cvt_f64_f32_e32 v[6:7], v6
	v_mul_f64 v[6:7], v[6:7], s[0:1]
	v_cvt_f32_f64_e32 v15, v[6:7]
	s_waitcnt lgkmcnt(0)
	v_mul_f32_e32 v6, v135, v11
	v_fmac_f32_e32 v6, v134, v10
	v_cvt_f64_f32_e32 v[6:7], v6
	v_mul_f64 v[6:7], v[6:7], s[0:1]
	v_cvt_f32_f64_e32 v6, v[6:7]
	v_mul_f32_e32 v7, v135, v10
	v_mad_u64_u32 v[2:3], s[6:7], s4, v17, v[2:3]
	v_fma_f32 v7, v134, v11, -v7
	v_add_u32_e32 v3, s2, v3
	v_cvt_f64_f32_e32 v[10:11], v7
	global_store_dwordx2 v[2:3], v[14:15], off
	v_mul_f64 v[10:11], v[10:11], s[0:1]
	v_mad_u64_u32 v[2:3], s[6:7], s4, v18, v[2:3]
	v_cvt_f32_f64_e32 v7, v[10:11]
	v_add_u32_e32 v3, s3, v3
	global_store_dwordx2 v[2:3], v[6:7], off
	v_mul_f32_e32 v6, v133, v9
	v_fmac_f32_e32 v6, v132, v8
	v_cvt_f64_f32_e32 v[6:7], v6
	v_mul_f64 v[6:7], v[6:7], s[0:1]
	v_cvt_f32_f64_e32 v6, v[6:7]
	v_mul_f32_e32 v7, v133, v8
	v_fma_f32 v7, v132, v9, -v7
	v_cvt_f64_f32_e32 v[8:9], v7
	v_mul_f64 v[8:9], v[8:9], s[0:1]
	v_mad_u64_u32 v[2:3], s[6:7], s4, v17, v[2:3]
	v_cvt_f32_f64_e32 v7, v[8:9]
	v_add_u32_e32 v3, s2, v3
	global_store_dwordx2 v[2:3], v[6:7], off
	v_mul_f32_e32 v6, v131, v13
	v_fmac_f32_e32 v6, v130, v12
	v_cvt_f64_f32_e32 v[6:7], v6
	v_mul_f64 v[6:7], v[6:7], s[0:1]
	v_cvt_f32_f64_e32 v10, v[6:7]
	v_mul_f32_e32 v6, v131, v12
	v_fma_f32 v6, v130, v13, -v6
	v_cvt_f64_f32_e32 v[6:7], v6
	v_mul_f64 v[6:7], v[6:7], s[0:1]
	v_cvt_f32_f64_e32 v11, v[6:7]
	ds_read2_b64 v[6:9], v19 offset0:128 offset1:184
	v_mad_u64_u32 v[2:3], s[6:7], s4, v18, v[2:3]
	v_add_u32_e32 v3, s3, v3
	global_store_dwordx2 v[2:3], v[10:11], off
	s_waitcnt lgkmcnt(0)
	v_mul_f32_e32 v10, v127, v7
	v_fmac_f32_e32 v10, v126, v6
	v_mul_f32_e32 v6, v127, v6
	v_fma_f32 v6, v126, v7, -v6
	v_cvt_f64_f32_e32 v[10:11], v10
	v_cvt_f64_f32_e32 v[6:7], v6
	v_mul_f64 v[10:11], v[10:11], s[0:1]
	v_mul_f64 v[6:7], v[6:7], s[0:1]
	v_accvgpr_read_b32 v13, a0
	v_cvt_f32_f64_e32 v10, v[10:11]
	v_cvt_f32_f64_e32 v11, v[6:7]
	v_mad_u64_u32 v[6:7], s[2:3], s4, v13, 0
	v_mov_b32_e32 v12, v7
	v_mad_u64_u32 v[12:13], s[2:3], s5, v13, v[12:13]
	v_mov_b32_e32 v7, v12
	v_lshl_add_u64 v[6:7], v[6:7], 3, v[4:5]
	global_store_dwordx2 v[6:7], v[10:11], off
	v_mul_f32_e32 v6, v111, v1
	v_fmac_f32_e32 v6, v110, v0
	v_mul_f32_e32 v0, v111, v0
	v_fma_f32 v0, v110, v1, -v0
	v_cvt_f64_f32_e32 v[6:7], v6
	v_cvt_f64_f32_e32 v[0:1], v0
	v_mul_f64 v[6:7], v[6:7], s[0:1]
	v_mul_f64 v[0:1], v[0:1], s[0:1]
	v_cvt_f32_f64_e32 v6, v[6:7]
	v_cvt_f32_f64_e32 v7, v[0:1]
	v_mad_u64_u32 v[0:1], s[2:3], s4, v109, 0
	v_mov_b32_e32 v10, v1
	v_mad_u64_u32 v[10:11], s[2:3], s5, v109, v[10:11]
	v_mov_b32_e32 v1, v10
	v_lshl_add_u64 v[0:1], v[0:1], 3, v[4:5]
	global_store_dwordx2 v[0:1], v[6:7], off
	v_mul_f32_e32 v0, v121, v9
	v_fmac_f32_e32 v0, v120, v8
	v_cvt_f64_f32_e32 v[0:1], v0
	v_mul_f64 v[0:1], v[0:1], s[0:1]
	v_cvt_f32_f64_e32 v0, v[0:1]
	v_mul_f32_e32 v1, v121, v8
	v_fma_f32 v1, v120, v9, -v1
	v_cvt_f64_f32_e32 v[4:5], v1
	v_mul_f64 v[4:5], v[4:5], s[0:1]
	v_cvt_f32_f64_e32 v1, v[4:5]
	v_mov_b32_e32 v4, 0x1180
	v_mad_u64_u32 v[2:3], s[0:1], s4, v4, v[2:3]
	s_mul_i32 s0, s5, 0x1180
	s_nop 0
	v_add_u32_e32 v3, s0, v3
	global_store_dwordx2 v[2:3], v[0:1], off
.LBB0_10:
	s_endpgm
	.section	.rodata,"a",@progbits
	.p2align	6, 0x0
	.amdhsa_kernel bluestein_single_back_len1008_dim1_sp_op_CI_CI
		.amdhsa_group_segment_fixed_size 8064
		.amdhsa_private_segment_fixed_size 0
		.amdhsa_kernarg_size 104
		.amdhsa_user_sgpr_count 2
		.amdhsa_user_sgpr_dispatch_ptr 0
		.amdhsa_user_sgpr_queue_ptr 0
		.amdhsa_user_sgpr_kernarg_segment_ptr 1
		.amdhsa_user_sgpr_dispatch_id 0
		.amdhsa_user_sgpr_kernarg_preload_length 0
		.amdhsa_user_sgpr_kernarg_preload_offset 0
		.amdhsa_user_sgpr_private_segment_size 0
		.amdhsa_uses_dynamic_stack 0
		.amdhsa_enable_private_segment 0
		.amdhsa_system_sgpr_workgroup_id_x 1
		.amdhsa_system_sgpr_workgroup_id_y 0
		.amdhsa_system_sgpr_workgroup_id_z 0
		.amdhsa_system_sgpr_workgroup_info 0
		.amdhsa_system_vgpr_workitem_id 0
		.amdhsa_next_free_vgpr 292
		.amdhsa_next_free_sgpr 26
		.amdhsa_accum_offset 256
		.amdhsa_reserve_vcc 1
		.amdhsa_float_round_mode_32 0
		.amdhsa_float_round_mode_16_64 0
		.amdhsa_float_denorm_mode_32 3
		.amdhsa_float_denorm_mode_16_64 3
		.amdhsa_dx10_clamp 1
		.amdhsa_ieee_mode 1
		.amdhsa_fp16_overflow 0
		.amdhsa_tg_split 0
		.amdhsa_exception_fp_ieee_invalid_op 0
		.amdhsa_exception_fp_denorm_src 0
		.amdhsa_exception_fp_ieee_div_zero 0
		.amdhsa_exception_fp_ieee_overflow 0
		.amdhsa_exception_fp_ieee_underflow 0
		.amdhsa_exception_fp_ieee_inexact 0
		.amdhsa_exception_int_div_zero 0
	.end_amdhsa_kernel
	.text
.Lfunc_end0:
	.size	bluestein_single_back_len1008_dim1_sp_op_CI_CI, .Lfunc_end0-bluestein_single_back_len1008_dim1_sp_op_CI_CI
                                        ; -- End function
	.section	.AMDGPU.csdata,"",@progbits
; Kernel info:
; codeLenInByte = 19468
; NumSgprs: 32
; NumVgprs: 256
; NumAgprs: 36
; TotalNumVgprs: 292
; ScratchSize: 0
; MemoryBound: 0
; FloatMode: 240
; IeeeMode: 1
; LDSByteSize: 8064 bytes/workgroup (compile time only)
; SGPRBlocks: 3
; VGPRBlocks: 36
; NumSGPRsForWavesPerEU: 32
; NumVGPRsForWavesPerEU: 292
; AccumOffset: 256
; Occupancy: 1
; WaveLimiterHint : 1
; COMPUTE_PGM_RSRC2:SCRATCH_EN: 0
; COMPUTE_PGM_RSRC2:USER_SGPR: 2
; COMPUTE_PGM_RSRC2:TRAP_HANDLER: 0
; COMPUTE_PGM_RSRC2:TGID_X_EN: 1
; COMPUTE_PGM_RSRC2:TGID_Y_EN: 0
; COMPUTE_PGM_RSRC2:TGID_Z_EN: 0
; COMPUTE_PGM_RSRC2:TIDIG_COMP_CNT: 0
; COMPUTE_PGM_RSRC3_GFX90A:ACCUM_OFFSET: 63
; COMPUTE_PGM_RSRC3_GFX90A:TG_SPLIT: 0
	.text
	.p2alignl 6, 3212836864
	.fill 256, 4, 3212836864
	.type	__hip_cuid_8899fd86b86f1cfe,@object ; @__hip_cuid_8899fd86b86f1cfe
	.section	.bss,"aw",@nobits
	.globl	__hip_cuid_8899fd86b86f1cfe
__hip_cuid_8899fd86b86f1cfe:
	.byte	0                               ; 0x0
	.size	__hip_cuid_8899fd86b86f1cfe, 1

	.ident	"AMD clang version 19.0.0git (https://github.com/RadeonOpenCompute/llvm-project roc-6.4.0 25133 c7fe45cf4b819c5991fe208aaa96edf142730f1d)"
	.section	".note.GNU-stack","",@progbits
	.addrsig
	.addrsig_sym __hip_cuid_8899fd86b86f1cfe
	.amdgpu_metadata
---
amdhsa.kernels:
  - .agpr_count:     36
    .args:
      - .actual_access:  read_only
        .address_space:  global
        .offset:         0
        .size:           8
        .value_kind:     global_buffer
      - .actual_access:  read_only
        .address_space:  global
        .offset:         8
        .size:           8
        .value_kind:     global_buffer
      - .actual_access:  read_only
        .address_space:  global
        .offset:         16
        .size:           8
        .value_kind:     global_buffer
      - .actual_access:  read_only
        .address_space:  global
        .offset:         24
        .size:           8
        .value_kind:     global_buffer
      - .actual_access:  read_only
        .address_space:  global
        .offset:         32
        .size:           8
        .value_kind:     global_buffer
      - .offset:         40
        .size:           8
        .value_kind:     by_value
      - .address_space:  global
        .offset:         48
        .size:           8
        .value_kind:     global_buffer
      - .address_space:  global
        .offset:         56
        .size:           8
        .value_kind:     global_buffer
      - .address_space:  global
        .offset:         64
        .size:           8
        .value_kind:     global_buffer
      - .address_space:  global
        .offset:         72
        .size:           8
        .value_kind:     global_buffer
      - .offset:         80
        .size:           4
        .value_kind:     by_value
      - .address_space:  global
        .offset:         88
        .size:           8
        .value_kind:     global_buffer
      - .address_space:  global
        .offset:         96
        .size:           8
        .value_kind:     global_buffer
    .group_segment_fixed_size: 8064
    .kernarg_segment_align: 8
    .kernarg_segment_size: 104
    .language:       OpenCL C
    .language_version:
      - 2
      - 0
    .max_flat_workgroup_size: 56
    .name:           bluestein_single_back_len1008_dim1_sp_op_CI_CI
    .private_segment_fixed_size: 0
    .sgpr_count:     32
    .sgpr_spill_count: 0
    .symbol:         bluestein_single_back_len1008_dim1_sp_op_CI_CI.kd
    .uniform_work_group_size: 1
    .uses_dynamic_stack: false
    .vgpr_count:     292
    .vgpr_spill_count: 0
    .wavefront_size: 64
amdhsa.target:   amdgcn-amd-amdhsa--gfx950
amdhsa.version:
  - 1
  - 2
...

	.end_amdgpu_metadata
